;; amdgpu-corpus repo=ROCm/aiter kind=harvested arch=n/a opt=n/a

/root/src/amdgpu-assembly/repos/ROCm__aiter/hsa/gfx942/fmoe/gelu/fmoe_int8_g1u0_subGU_256_gelu.co:	file format elf64-amdgpu

Disassembly of section .text:

0000000000002b00 <fmoe_int8_g1u0_subGU_256_gelu>:
	s_and_b32 s1, s1, 0xffff                                   // 000000002B00: 8601FF01 0000FFFF
	s_load_dwordx2 s[8:9], s[0:1], 0x0                         // 000000002B08: C0060200 00000000
	s_load_dwordx2 s[20:21], s[0:1], 0x10                      // 000000002B10: C0060500 00000010
	s_load_dwordx2 s[24:25], s[0:1], 0x20                      // 000000002B18: C0060600 00000020
	s_load_dwordx2 s[50:51], s[0:1], 0x30                      // 000000002B20: C0060C80 00000030
	s_load_dwordx2 s[12:13], s[0:1], 0x40                      // 000000002B28: C0060300 00000040
	s_load_dwordx2 s[28:29], s[0:1], 0x50                      // 000000002B30: C0060700 00000050
	s_load_dwordx2 s[32:33], s[0:1], 0x60                      // 000000002B38: C0060800 00000060
	s_load_dwordx2 s[16:17], s[0:1], 0x70                      // 000000002B40: C0060400 00000070
	s_load_dwordx2 s[36:37], s[0:1], 0x80                      // 000000002B48: C0060900 00000080
	s_load_dwordx2 s[44:45], s[0:1], 0x90                      // 000000002B50: C0060B00 00000090
	s_load_dwordx2 s[40:41], s[0:1], 0xa0                      // 000000002B58: C0060A00 000000A0
	s_load_dwordx2 s[46:47], s[0:1], 0xb0                      // 000000002B60: C0060B80 000000B0
	s_load_dword s64, s[0:1], 0xc0                             // 000000002B68: C0021000 000000C0
	s_load_dword s65, s[0:1], 0xd0                             // 000000002B70: C0021040 000000D0
	s_load_dword s66, s[0:1], 0xe0                             // 000000002B78: C0021080 000000E0
	s_load_dword s67, s[0:1], 0xf0                             // 000000002B80: C00210C0 000000F0
	s_load_dword s68, s[0:1], 0x100                            // 000000002B88: C0021100 00000100
	s_load_dword s69, s[0:1], 0x110                            // 000000002B90: C0021140 00000110
	s_load_dword s70, s[0:1], 0x120                            // 000000002B98: C0021180 00000120
	s_load_dword s71, s[0:1], 0x130                            // 000000002BA0: C00211C0 00000130
	s_load_dword s72, s[0:1], 0x140                            // 000000002BA8: C0021200 00000140
	s_load_dword s73, s[0:1], 0x150                            // 000000002BB0: C0021240 00000150
	s_load_dword s74, s[0:1], 0x160                            // 000000002BB8: C0021280 00000160
	s_load_dword s75, s[0:1], 0x170                            // 000000002BC0: C00212C0 00000170
	s_load_dword s76, s[0:1], 0x180                            // 000000002BC8: C0021300 00000180
	s_load_dword s63, s[0:1], 0x190                            // 000000002BD0: C0020FC0 00000190
	v_lshrrev_b32_e32 v1, 10, v0                               // 000000002BD8: 2002008A
	v_lshrrev_b32_e32 v2, 10, v1                               // 000000002BDC: 2004028A
	v_and_b32_e32 v2, 0x3ff, v2                                // 000000002BE0: 260404FF 000003FF
	v_and_b32_e32 v1, 0x3ff, v1                                // 000000002BE8: 260202FF 000003FF
	v_and_b32_e32 v0, 0x3ff, v0                                // 000000002BF0: 260000FF 000003FF
	v_lshrrev_b32_e32 v3, 6, v0                                // 000000002BF8: 20060086
	v_and_b32_e32 v0, 63, v0                                   // 000000002BFC: 260000BF
	s_mov_b32 s2, s2                                           // 000000002C00: BE820002
	s_mov_b32 s3, s3                                           // 000000002C04: BE830003
	s_mov_b32 s4, s4                                           // 000000002C08: BE840004
	v_readfirstlane_b32 s7, v3                                 // 000000002C0C: 7E0E0503
	s_waitcnt lgkmcnt(0)                                       // 000000002C10: BF8CC07F
	s_and_b32 s51, s51, 0xffff                                 // 000000002C14: 8633FF33 0000FFFF
	s_load_dword s50, s[50:51], 0x0                            // 000000002C1C: C0020C99 00000000
	s_and_b32 s45, s45, 0xffff                                 // 000000002C24: 862DFF2D 0000FFFF
	s_and_b32 s47, s47, 0xffff                                 // 000000002C2C: 862FFF2F 0000FFFF
	s_and_b32 s9, s9, 0xffff                                   // 000000002C34: 8609FF09 0000FFFF
	s_mul_i32 s60, s66, s68                                    // 000000002C3C: 923C4442
	s_mul_i32 s60, s63, s60                                    // 000000002C40: 923C3C3F
	s_mul_i32 s61, s66, 4                                      // 000000002C44: 923D8442
	s_mul_i32 s61, s63, s61                                    // 000000002C48: 923D3D3F
	s_mov_b32 s22, s60                                         // 000000002C4C: BE96003C
	s_mov_b32 s26, 0x80000000                                  // 000000002C50: BE9A00FF 80000000
	s_mov_b32 s14, 0x80000000                                  // 000000002C58: BE8E00FF 80000000
	s_mov_b32 s42, 0x80000000                                  // 000000002C60: BEAA00FF 80000000
	s_mov_b32 s30, s61                                         // 000000002C68: BE9E003D
	s_mov_b32 s34, 0x400                                       // 000000002C6C: BEA200FF 00000400
	s_mov_b32 s38, 0x400                                       // 000000002C74: BEA600FF 00000400
	s_mov_b32 s18, 0x80000000                                  // 000000002C7C: BE9200FF 80000000
	s_mov_b32 s23, 0x20000                                     // 000000002C84: BE9700FF 00020000
	s_mov_b32 s27, 0x20000                                     // 000000002C8C: BE9B00FF 00020000
	s_mov_b32 s15, 0x20000                                     // 000000002C94: BE8F00FF 00020000
	s_mov_b32 s43, 0x20000                                     // 000000002C9C: BEAB00FF 00020000
	s_mov_b32 s31, 0x20000                                     // 000000002CA4: BE9F00FF 00020000
	s_mov_b32 s35, 0x20000                                     // 000000002CAC: BEA300FF 00020000
	s_mov_b32 s39, 0x20000                                     // 000000002CB4: BEA700FF 00020000
	s_mov_b32 s19, 0x20000                                     // 000000002CBC: BE9300FF 00020000
	s_and_b32 s21, s21, 0xffff                                 // 000000002CC4: 8615FF15 0000FFFF
	s_and_b32 s25, s25, 0xffff                                 // 000000002CCC: 8619FF19 0000FFFF
	s_and_b32 s13, s13, 0xffff                                 // 000000002CD4: 860DFF0D 0000FFFF
	s_and_b32 s41, s41, 0xffff                                 // 000000002CDC: 8629FF29 0000FFFF
	s_and_b32 s29, s29, 0xffff                                 // 000000002CE4: 861DFF1D 0000FFFF
	s_and_b32 s33, s33, 0xffff                                 // 000000002CEC: 8621FF21 0000FFFF
	s_and_b32 s37, s37, 0xffff                                 // 000000002CF4: 8625FF25 0000FFFF
	s_and_b32 s17, s17, 0xffff                                 // 000000002CFC: 8611FF11 0000FFFF
	s_or_b32 s21, s21, 0x40000                                 // 000000002D04: 8715FF15 00040000
	s_or_b32 s25, s25, 0x40000                                 // 000000002D0C: 8719FF19 00040000
	s_or_b32 s13, s13, 0x40000                                 // 000000002D14: 870DFF0D 00040000
	s_or_b32 s41, s41, 0x40000                                 // 000000002D1C: 8729FF29 00040000
	s_or_b32 s29, s29, 0x40000                                 // 000000002D24: 871DFF1D 00040000
	s_or_b32 s33, s33, 0x40000                                 // 000000002D2C: 8721FF21 00040000
	s_or_b32 s37, s37, 0x40000                                 // 000000002D34: 8725FF25 00040000
	s_or_b32 s17, s17, 0x40000                                 // 000000002D3C: 8711FF11 00040000
	v_accvgpr_write_b32 a127, 0                                // 000000002D44: D3D9407F 18000080
	v_mov_b32_e32 v223, 0                                      // 000000002D4C: 7FBE0280
	s_waitcnt lgkmcnt(0)                                       // 000000002D50: BF8CC07F
	s_mul_i32 s60, s3, 32                                      // 000000002D54: 923CA003
	s_cmp_lt_i32 s60, s50                                      // 000000002D58: BF04323C
	s_cbranch_scc0 label_17D1                                  // 000000002D5C: BF841739
	s_mov_b32 s80, 0                                           // 000000002D60: BED00080
	s_mov_b32 s81, s64                                         // 000000002D64: BED10040
	s_mul_i32 s60, s3, 4                                       // 000000002D68: 923C8403
	s_add_u32 s46, s60, s46                                    // 000000002D6C: 802E2E3C
	s_addc_u32 s47, 0, s47                                     // 000000002D70: 822F2F80
	s_load_dword s5, s[46:47], 0x0                             // 000000002D74: C0020157 00000000
	s_mul_i32 s60, s3, 32                                      // 000000002D7C: 923CA003
	s_mul_i32 s60, 4, s60                                      // 000000002D80: 923C3C84
	v_and_b32_e32 v44, 15, v0                                  // 000000002D84: 2658008F
	v_lshlrev_b32_e32 v44, 2, v44                              // 000000002D88: 24585882
	v_add_u32_e32 v44, s60, v44                                // 000000002D8C: 6858583C
	v_mov_b32_e32 v45, 0                                       // 000000002D90: 7E5A0280
	global_load_dword v6, v44, s[44:45]                        // 000000002D94: DC508000 062C002C
	v_add_u32_e32 v44, 64, v44                                 // 000000002D9C: 685858C0
	global_load_dword v7, v44, s[44:45]                        // 000000002DA0: DC508000 072C002C
	s_mul_i32 s60, s3, 32                                      // 000000002DA8: 923CA003
	s_add_u32 s60, s7, s60                                     // 000000002DAC: 803C3C07
	s_mul_i32 s60, 4, s60                                      // 000000002DB0: 923C3C84
	s_add_u32 s44, s60, s44                                    // 000000002DB4: 802C2C3C
	s_addc_u32 s45, 0, s45                                     // 000000002DB8: 822D2D80
	s_load_dword s82, s[44:45], 0x0                            // 000000002DBC: C0021496 00000000
	s_load_dword s83, s[44:45], 0x10                           // 000000002DC4: C00214D6 00000010
	s_load_dword s84, s[44:45], 0x20                           // 000000002DCC: C0021516 00000020
	s_load_dword s85, s[44:45], 0x30                           // 000000002DD4: C0021556 00000030
	s_load_dword s86, s[44:45], 0x40                           // 000000002DDC: C0021596 00000040
	s_load_dword s87, s[44:45], 0x50                           // 000000002DE4: C00215D6 00000050
	s_load_dword s88, s[44:45], 0x60                           // 000000002DEC: C0021616 00000060
	s_load_dword s89, s[44:45], 0x70                           // 000000002DF4: C0021656 00000070
	s_waitcnt lgkmcnt(0)                                       // 000000002DFC: BF8CC07F
	v_lshlrev_b32_e32 v44, 2, v0                               // 000000002E00: 24580082
	s_lshr_b32 s61, s82, 24                                    // 000000002E04: 8F3D9852
	s_mul_i32 s61, s61, s68                                    // 000000002E08: 923D443D
	s_mul_i32 s61, s61, s66                                    // 000000002E0C: 923D423D
	s_and_b32 s82, s82, 0xffffff                               // 000000002E10: 8652FF52 00FFFFFF
	s_mul_i32 s60, s82, s68                                    // 000000002E18: 923C4452
	s_add_u32 s60, s61, s60                                    // 000000002E1C: 803C3C3D
	v_add_u32_e64 v24, v44, s60                                // 000000002E20: D1340018 0000792C
	s_lshr_b32 s61, s83, 24                                    // 000000002E28: 8F3D9853
	s_mul_i32 s61, s61, s68                                    // 000000002E2C: 923D443D
	s_mul_i32 s61, s61, s66                                    // 000000002E30: 923D423D
	s_and_b32 s83, s83, 0xffffff                               // 000000002E34: 8653FF53 00FFFFFF
	s_mul_i32 s60, s83, s68                                    // 000000002E3C: 923C4453
	s_add_u32 s60, s61, s60                                    // 000000002E40: 803C3C3D
	v_add_u32_e64 v25, v44, s60                                // 000000002E44: D1340019 0000792C
	s_lshr_b32 s61, s84, 24                                    // 000000002E4C: 8F3D9854
	s_mul_i32 s61, s61, s68                                    // 000000002E50: 923D443D
	s_mul_i32 s61, s61, s66                                    // 000000002E54: 923D423D
	s_and_b32 s84, s84, 0xffffff                               // 000000002E58: 8654FF54 00FFFFFF
	s_mul_i32 s60, s84, s68                                    // 000000002E60: 923C4454
	s_add_u32 s60, s61, s60                                    // 000000002E64: 803C3C3D
	v_add_u32_e64 v26, v44, s60                                // 000000002E68: D134001A 0000792C
	s_lshr_b32 s61, s85, 24                                    // 000000002E70: 8F3D9855
	s_mul_i32 s61, s61, s68                                    // 000000002E74: 923D443D
	s_mul_i32 s61, s61, s66                                    // 000000002E78: 923D423D
	s_and_b32 s85, s85, 0xffffff                               // 000000002E7C: 8655FF55 00FFFFFF
	s_mul_i32 s60, s85, s68                                    // 000000002E84: 923C4455
	s_add_u32 s60, s61, s60                                    // 000000002E88: 803C3C3D
	v_add_u32_e64 v27, v44, s60                                // 000000002E8C: D134001B 0000792C
	s_lshr_b32 s61, s86, 24                                    // 000000002E94: 8F3D9856
	s_mul_i32 s61, s61, s68                                    // 000000002E98: 923D443D
	s_mul_i32 s61, s61, s66                                    // 000000002E9C: 923D423D
	s_and_b32 s86, s86, 0xffffff                               // 000000002EA0: 8656FF56 00FFFFFF
	s_mul_i32 s60, s86, s68                                    // 000000002EA8: 923C4456
	s_add_u32 s60, s61, s60                                    // 000000002EAC: 803C3C3D
	v_add_u32_e64 v28, v44, s60                                // 000000002EB0: D134001C 0000792C
	s_lshr_b32 s61, s87, 24                                    // 000000002EB8: 8F3D9857
	s_mul_i32 s61, s61, s68                                    // 000000002EBC: 923D443D
	s_mul_i32 s61, s61, s66                                    // 000000002EC0: 923D423D
	s_and_b32 s87, s87, 0xffffff                               // 000000002EC4: 8657FF57 00FFFFFF
	s_mul_i32 s60, s87, s68                                    // 000000002ECC: 923C4457
	s_add_u32 s60, s61, s60                                    // 000000002ED0: 803C3C3D
	v_add_u32_e64 v29, v44, s60                                // 000000002ED4: D134001D 0000792C
	s_lshr_b32 s61, s88, 24                                    // 000000002EDC: 8F3D9858
	s_mul_i32 s61, s61, s68                                    // 000000002EE0: 923D443D
	s_mul_i32 s61, s61, s66                                    // 000000002EE4: 923D423D
	s_and_b32 s88, s88, 0xffffff                               // 000000002EE8: 8658FF58 00FFFFFF
	s_mul_i32 s60, s88, s68                                    // 000000002EF0: 923C4458
	s_add_u32 s60, s61, s60                                    // 000000002EF4: 803C3C3D
	v_add_u32_e64 v30, v44, s60                                // 000000002EF8: D134001E 0000792C
	s_lshr_b32 s61, s89, 24                                    // 000000002F00: 8F3D9859
	s_mul_i32 s61, s61, s68                                    // 000000002F04: 923D443D
	s_mul_i32 s61, s61, s66                                    // 000000002F08: 923D423D
	s_and_b32 s89, s89, 0xffffff                               // 000000002F0C: 8659FF59 00FFFFFF
	s_mul_i32 s60, s89, s68                                    // 000000002F14: 923C4459
	s_add_u32 s60, s61, s60                                    // 000000002F18: 803C3C3D
	v_add_u32_e64 v31, v44, s60                                // 000000002F1C: D134001F 0000792C
	v_lshlrev_b32_e32 v44, 2, v0                               // 000000002F24: 24580082
	s_mul_i32 s60, s82, s71                                    // 000000002F28: 923C4752
	v_add_u32_e64 v80, v44, s60                                // 000000002F2C: D1340050 0000792C
	v_mov_b32_e32 v81, 0                                       // 000000002F34: 7EA20280
	s_mul_i32 s60, s83, s71                                    // 000000002F38: 923C4753
	v_add_u32_e64 v82, v44, s60                                // 000000002F3C: D1340052 0000792C
	v_mov_b32_e32 v83, 0                                       // 000000002F44: 7EA60280
	s_mul_i32 s60, s84, s71                                    // 000000002F48: 923C4754
	v_add_u32_e64 v84, v44, s60                                // 000000002F4C: D1340054 0000792C
	v_mov_b32_e32 v85, 0                                       // 000000002F54: 7EAA0280
	s_mul_i32 s60, s85, s71                                    // 000000002F58: 923C4755
	v_add_u32_e64 v86, v44, s60                                // 000000002F5C: D1340056 0000792C
	v_mov_b32_e32 v87, 0                                       // 000000002F64: 7EAE0280
	s_mul_i32 s60, s86, s71                                    // 000000002F68: 923C4756
	v_add_u32_e64 v88, v44, s60                                // 000000002F6C: D1340058 0000792C
	v_mov_b32_e32 v89, 0                                       // 000000002F74: 7EB20280
	s_mul_i32 s60, s87, s71                                    // 000000002F78: 923C4757
	v_add_u32_e64 v90, v44, s60                                // 000000002F7C: D134005A 0000792C
	v_mov_b32_e32 v91, 0                                       // 000000002F84: 7EB60280
	s_mul_i32 s60, s88, s71                                    // 000000002F88: 923C4758
	v_add_u32_e64 v92, v44, s60                                // 000000002F8C: D134005C 0000792C
	v_mov_b32_e32 v93, 0                                       // 000000002F94: 7EBA0280
	s_mul_i32 s60, s89, s71                                    // 000000002F98: 923C4759
	v_add_u32_e64 v94, v44, s60                                // 000000002F9C: D134005E 0000792C
	v_mov_b32_e32 v95, 0                                       // 000000002FA4: 7EBE0280
	s_mul_i32 s60, s7, 0x820                                   // 000000002FA8: 923CFF07 00000820
	s_add_u32 s50, 0, s60                                      // 000000002FB0: 80323C80
	s_add_u32 s51, 0x2080, s50                                 // 000000002FB4: 803332FF 00002080
	v_lshrrev_b32_e32 v44, 4, v0                               // 000000002FBC: 20580084
	v_lshlrev_b32_e32 v45, 2, v44                              // 000000002FC0: 245A5882
	v_and_b32_e32 v44, 15, v0                                  // 000000002FC4: 2658008F
	v_lshrrev_b32_e32 v46, 2, v44                              // 000000002FC8: 205C5882
	v_lshlrev_b32_e32 v46, 6, v46                              // 000000002FCC: 245C5C86
	v_add_u32_e32 v45, v46, v45                                // 000000002FD0: 685A5B2E
	v_and_b32_e32 v44, 3, v0                                   // 000000002FD4: 26580083
	v_mul_i32_i24_e32 v46, 0x208, v44                          // 000000002FD8: 0C5C58FF 00000208
	v_add_u32_e32 v45, v46, v45                                // 000000002FE0: 685A5B2E
	v_lshlrev_b32_e32 v2, 2, v45                               // 000000002FE4: 24045A82
	s_mul_i32 s60, s2, 0x100                                   // 000000002FE8: 923CFF02 00000100
	s_mul_i32 s60, s60, s69                                    // 000000002FF0: 923C453C
	s_mul_i32 s61, s5, s72                                     // 000000002FF4: 923D4805
	s_add_u32 s60, s61, s60                                    // 000000002FF8: 803C3C3D
	s_add_u32 s24, s60, s24                                    // 000000002FFC: 8018183C
	s_addc_u32 s25, 0, s25                                     // 000000003000: 82191980
	s_mul_i32 s60, s7, 16                                      // 000000003004: 923C9007
	s_mul_i32 s60, s60, s69                                    // 000000003008: 923C453C
	v_lshlrev_b32_e32 v32, 4, v0                               // 00000000300C: 24400084
	v_add_u32_e32 v32, s60, v32                                // 000000003010: 6840403C
	s_mul_i32 s60, 64, s69                                     // 000000003014: 923C45C0
	v_add_u32_e32 v33, s60, v32                                // 000000003018: 6842403C
	v_add_u32_e32 v34, s60, v33                                // 00000000301C: 6844423C
	v_add_u32_e32 v35, s60, v34                                // 000000003020: 6846443C
	s_mul_i32 s60, s2, 0x1000                                  // 000000003024: 923CFF02 00001000
	s_mul_i32 s61, s5, s73                                     // 00000000302C: 923D4905
	s_add_u32 s60, s61, s60                                    // 000000003030: 803C3C3D
	s_add_u32 s12, s60, s12                                    // 000000003034: 800C0C3C
	s_addc_u32 s13, 0, s13                                     // 000000003038: 820D0D80
	s_mul_i32 s60, s7, 16                                      // 00000000303C: 923C9007
	s_mul_i32 s60, s60, s70                                    // 000000003040: 923C463C
	v_lshlrev_b32_e32 v36, 4, v0                               // 000000003044: 24480084
	v_add_u32_e32 v36, s60, v36                                // 000000003048: 6848483C
	s_mul_i32 s60, 64, s70                                     // 00000000304C: 923C46C0
	v_add_u32_e32 v37, s60, v36                                // 000000003050: 684A483C
	v_add_u32_e32 v38, s60, v37                                // 000000003054: 684C4A3C
	v_add_u32_e32 v39, s60, v38                                // 000000003058: 684E4C3C
	s_mul_i32 s60, s3, 32                                      // 00000000305C: 923CA003
	s_mul_i32 s60, 4, s60                                      // 000000003060: 923C3C84
	s_add_u32 s40, s60, s40                                    // 000000003064: 8028283C
	s_addc_u32 s41, 0, s41                                     // 000000003068: 82292980
	v_and_b32_e32 v44, 15, v0                                  // 00000000306C: 2658008F
	v_lshlrev_b32_e32 v8, 2, v44                               // 000000003070: 24105882
	v_add_u32_e32 v9, 64, v8                                   // 000000003074: 681210C0
	v_lshrrev_b32_e32 v44, 4, v0                               // 000000003078: 20580084
	v_lshlrev_b32_e32 v45, 2, v44                              // 00000000307C: 245A5882
	v_and_b32_e32 v44, 15, v0                                  // 000000003080: 2658008F
	v_lshrrev_b32_e32 v46, 2, v44                              // 000000003084: 205C5882
	v_lshlrev_b32_e32 v46, 6, v46                              // 000000003088: 245C5C86
	v_add_u32_e32 v45, v46, v45                                // 00000000308C: 685A5B2E
	v_and_b32_e32 v44, 3, v0                                   // 000000003090: 26580083
	v_add_u32_e32 v45, v44, v45                                // 000000003094: 685A5B2C
	v_lshlrev_b32_e32 v10, 2, v45                              // 000000003098: 24145A82
	v_add_u32_e32 v11, 0x400, v10                              // 00000000309C: 681614FF 00000400
	s_mul_i32 s60, s7, 16                                      // 0000000030A4: 923C9007
	s_mul_i32 s60, s60, 4                                      // 0000000030A8: 923C843C
	v_add_u32_e32 v10, s60, v10                                // 0000000030AC: 6814143C
	v_add_u32_e32 v11, s60, v11                                // 0000000030B0: 6816163C
	v_mov_b32_e32 v5, v10                                      // 0000000030B4: 7E0A030A
	s_mul_i32 s60, s2, 0x100                                   // 0000000030B8: 923CFF02 00000100
	s_mul_i32 s60, s60, 4                                      // 0000000030C0: 923C843C
	s_mul_i32 s61, s5, s74                                     // 0000000030C4: 923D4A05
	s_add_u32 s61, s61, s60                                    // 0000000030C8: 803D3C3D
	s_mul_i32 s62, s5, s76                                     // 0000000030CC: 923E4C05
	s_add_u32 s62, s62, s60                                    // 0000000030D0: 803E3C3E
	s_add_u32 s32, s61, s32                                    // 0000000030D4: 8020203D
	s_addc_u32 s33, 0, s33                                     // 0000000030D8: 82212180
	s_add_u32 s36, s62, s36                                    // 0000000030DC: 8024243E
	s_addc_u32 s37, 0, s37                                     // 0000000030E0: 82252580
	s_mul_i32 s60, s5, s75                                     // 0000000030E4: 923C4B05
	s_add_u32 s16, s60, s16                                    // 0000000030E8: 8010103C
	s_addc_u32 s17, 0, s17                                     // 0000000030EC: 82111180
	s_mov_b32 s57, 0x100                                       // 0000000030F0: BEB900FF 00000100
	s_mov_b32 s58, 0x1000                                      // 0000000030F8: BEBA00FF 00001000
	s_mov_b32 s79, 0x400                                       // 000000003100: BECF00FF 00000400
	s_mov_b32 s59, 0x200                                       // 000000003108: BEBB00FF 00000200
	s_mul_i32 s60, s70, 0x100                                  // 000000003110: 923CFF46 00000100
	s_mov_b32 s78, 0x400                                       // 000000003118: BECE00FF 00000400
	s_mul_i32 s61, s78, 3                                      // 000000003120: 923D834E
	s_sub_u32 s56, s60, s61                                    // 000000003124: 80B83D3C
	s_mov_b32 s52, 0x7060302                                   // 000000003128: BEB400FF 07060302
	s_mov_b32 s53, 0x400                                       // 000000003130: BEB500FF 00000400
	s_mov_b32 s54, 0x40100                                     // 000000003138: BEB600FF 00040100
	s_mov_b32 s55, 0x4020100                                   // 000000003140: BEB700FF 04020100
	s_mov_b32 s6, 0x3fb8aa3b                                   // 000000003148: BE8600FF 3FB8AA3B
	s_mov_b32 s77, 0xbd92220c                                  // 000000003150: BECD00FF BD92220C
	s_mov_b32 m0, s50                                          // 000000003158: BEFC0032
	v_mov_b32_e32 v1, 0xbfcc4231                               // 00000000315C: 7E0202FF BFCC4231
	v_mov_b32_e32 v41, 0xffff0000                              // 000000003164: 7E5202FF FFFF0000
	v_mov_b32_e32 v42, 0x7fff0000                              // 00000000316C: 7E5402FF 7FFF0000
	v_mov_b32_e32 v43, 0x7fff                                  // 000000003174: 7E5602FF 00007FFF
	s_waitcnt vmcnt(0) expcnt(0) lgkmcnt(0)                    // 00000000317C: BF8C0000
	v_lshrrev_b32_e32 v44, 24, v6                              // 000000003180: 20580C98
	v_mul_i32_i24_e32 v44, s66, v44                            // 000000003184: 0C585842
	v_and_b32_e32 v45, 0xffffff, v6                            // 000000003188: 265A0CFF 00FFFFFF
	v_add_u32_e32 v6, v44, v45                                 // 000000003190: 680C5B2C
	v_lshrrev_b32_e32 v44, 24, v7                              // 000000003194: 20580E98
	v_mul_i32_i24_e32 v44, s66, v44                            // 000000003198: 0C585842
	v_and_b32_e32 v45, 0xffffff, v7                            // 00000000319C: 265A0EFF 00FFFFFF
	v_add_u32_e32 v7, v44, v45                                 // 0000000031A4: 680E5B2C
	v_lshlrev_b32_e32 v6, 2, v6                                // 0000000031A8: 240C0C82
	v_lshlrev_b32_e32 v7, 2, v7                                // 0000000031AC: 240E0E82
	buffer_load_dword v13, v6, s[28:31], 0 offen               // 0000000031B0: E0501000 80070D06
	buffer_load_dword v14, v7, s[28:31], 0 offen               // 0000000031B8: E0501000 80070E07
	buffer_load_dword v15, v10, s[32:35], 0 offen              // 0000000031C0: E0501000 80080F0A
	buffer_load_dword v16, v11, s[32:35], 0 offen              // 0000000031C8: E0501000 8008100B
	buffer_load_dword v16, v10, s[36:39], 0 offen              // 0000000031D0: E0501000 8009100A
	buffer_load_dword v17, v11, s[36:39], 0 offen              // 0000000031D8: E0501000 8009110B
	buffer_load_dword v17, v8, s[40:43], 0 offen               // 0000000031E0: E0501000 800A1108
	buffer_load_dword v18, v9, s[40:43], 0 offen               // 0000000031E8: E0501000 800A1209
	buffer_load_dword v24, s[20:23], 0 offen lds               // 0000000031F0: E0511000 80050018
	s_add_u32 m0, 0x100, s50                                   // 0000000031F8: 807C32FF 00000100
	buffer_load_dword v25, s[20:23], 0 offen lds               // 000000003200: E0511000 80050019
	s_add_u32 m0, 0x200, s50                                   // 000000003208: 807C32FF 00000200
	buffer_load_dword v26, s[20:23], 0 offen lds               // 000000003210: E0511000 8005001A
	s_add_u32 m0, 0x300, s50                                   // 000000003218: 807C32FF 00000300
	buffer_load_dword v27, s[20:23], 0 offen lds               // 000000003220: E0511000 8005001B
	s_add_u32 m0, 0x400, s50                                   // 000000003228: 807C32FF 00000400
	buffer_load_dword v28, s[20:23], 0 offen lds               // 000000003230: E0511000 8005001C
	s_add_u32 m0, 0x500, s50                                   // 000000003238: 807C32FF 00000500
	buffer_load_dword v29, s[20:23], 0 offen lds               // 000000003240: E0511000 8005001D
	s_add_u32 m0, 0x600, s50                                   // 000000003248: 807C32FF 00000600
	buffer_load_dword v30, s[20:23], 0 offen lds               // 000000003250: E0511000 8005001E
	s_add_u32 m0, 0x700, s50                                   // 000000003258: 807C32FF 00000700
	buffer_load_dword v31, s[20:23], 0 offen lds               // 000000003260: E0511000 8005001F
	s_add_u32 m0, 0, s51                                       // 000000003268: 807C3380
	s_add_u32 s20, s57, s20                                    // 00000000326C: 80141439
	s_addc_u32 s21, 0, s21                                     // 000000003270: 82151580
	buffer_load_dword v24, s[20:23], 0 offen lds               // 000000003274: E0511000 80050018
	s_add_u32 m0, 0x100, s51                                   // 00000000327C: 807C33FF 00000100
	buffer_load_dword v25, s[20:23], 0 offen lds               // 000000003284: E0511000 80050019
	s_add_u32 m0, 0x200, s51                                   // 00000000328C: 807C33FF 00000200
	buffer_load_dword v26, s[20:23], 0 offen lds               // 000000003294: E0511000 8005001A
	s_add_u32 m0, 0x300, s51                                   // 00000000329C: 807C33FF 00000300
	buffer_load_dword v27, s[20:23], 0 offen lds               // 0000000032A4: E0511000 8005001B
	s_add_u32 m0, 0x400, s51                                   // 0000000032AC: 807C33FF 00000400
	buffer_load_dword v28, s[20:23], 0 offen lds               // 0000000032B4: E0511000 8005001C
	s_add_u32 m0, 0x500, s51                                   // 0000000032BC: 807C33FF 00000500
	buffer_load_dword v29, s[20:23], 0 offen lds               // 0000000032C4: E0511000 8005001D
	s_add_u32 m0, 0x600, s51                                   // 0000000032CC: 807C33FF 00000600
	buffer_load_dword v30, s[20:23], 0 offen lds               // 0000000032D4: E0511000 8005001E
	s_add_u32 m0, 0x700, s51                                   // 0000000032DC: 807C33FF 00000700
	buffer_load_dword v31, s[20:23], 0 offen lds               // 0000000032E4: E0511000 8005001F
	s_add_u32 m0, 0, s50                                       // 0000000032EC: 807C3280
	s_add_u32 s20, s57, s20                                    // 0000000032F0: 80141439
	s_addc_u32 s21, 0, s21                                     // 0000000032F4: 82151580
	buffer_load_dwordx4 a[0:3], v32, s[24:27], 0 offen         // 0000000032F8: E05C1000 80860020
	buffer_load_dwordx4 a[4:7], v32, s[24:27], 0 offen offset:1024// 000000003300: E05C1400 80860420
	buffer_load_dwordx4 a[8:11], v32, s[24:27], 0 offen offset:2048// 000000003308: E05C1800 80860820
	buffer_load_dwordx4 a[12:15], v32, s[24:27], 0 offen offset:3072// 000000003310: E05C1C00 80860C20
	buffer_load_dwordx4 a[16:19], v33, s[24:27], 0 offen       // 000000003318: E05C1000 80861021
	buffer_load_dwordx4 a[20:23], v33, s[24:27], 0 offen offset:1024// 000000003320: E05C1400 80861421
	buffer_load_dwordx4 a[24:27], v33, s[24:27], 0 offen offset:2048// 000000003328: E05C1800 80861821
	buffer_load_dwordx4 a[28:31], v33, s[24:27], 0 offen offset:3072// 000000003330: E05C1C00 80861C21
	buffer_load_dwordx4 a[32:35], v34, s[24:27], 0 offen       // 000000003338: E05C1000 80862022
	buffer_load_dwordx4 a[36:39], v34, s[24:27], 0 offen offset:1024// 000000003340: E05C1400 80862422
	buffer_load_dwordx4 a[40:43], v34, s[24:27], 0 offen offset:2048// 000000003348: E05C1800 80862822
	buffer_load_dwordx4 a[44:47], v34, s[24:27], 0 offen offset:3072// 000000003350: E05C1C00 80862C22
	buffer_load_dwordx4 a[48:51], v35, s[24:27], 0 offen       // 000000003358: E05C1000 80863023
	buffer_load_dwordx4 a[52:55], v35, s[24:27], 0 offen offset:1024// 000000003360: E05C1400 80863423
	buffer_load_dwordx4 a[56:59], v35, s[24:27], 0 offen offset:2048// 000000003368: E05C1800 80863823
	buffer_load_dwordx4 a[60:63], v35, s[24:27], 0 offen offset:3072// 000000003370: E05C1C00 80863C23
	s_add_u32 s24, s58, s24                                    // 000000003378: 8018183A
	s_addc_u32 s25, 0, s25                                     // 00000000337C: 82191980
	v_mov_b32_e32 v128, 0                                      // 000000003380: 7F000280
	v_mov_b32_e32 v129, 0                                      // 000000003384: 7F020280
	v_mov_b32_e32 v130, 0                                      // 000000003388: 7F040280
	v_mov_b32_e32 v131, 0                                      // 00000000338C: 7F060280
	v_mov_b32_e32 v132, 0                                      // 000000003390: 7F080280
	v_mov_b32_e32 v133, 0                                      // 000000003394: 7F0A0280
	v_mov_b32_e32 v134, 0                                      // 000000003398: 7F0C0280
	v_mov_b32_e32 v135, 0                                      // 00000000339C: 7F0E0280
	v_mov_b32_e32 v136, 0                                      // 0000000033A0: 7F100280
	v_mov_b32_e32 v137, 0                                      // 0000000033A4: 7F120280
	v_mov_b32_e32 v138, 0                                      // 0000000033A8: 7F140280
	v_mov_b32_e32 v139, 0                                      // 0000000033AC: 7F160280
	v_mov_b32_e32 v140, 0                                      // 0000000033B0: 7F180280
	v_mov_b32_e32 v141, 0                                      // 0000000033B4: 7F1A0280
	v_mov_b32_e32 v142, 0                                      // 0000000033B8: 7F1C0280
	v_mov_b32_e32 v143, 0                                      // 0000000033BC: 7F1E0280
	v_mov_b32_e32 v144, 0                                      // 0000000033C0: 7F200280
	v_mov_b32_e32 v145, 0                                      // 0000000033C4: 7F220280
	v_mov_b32_e32 v146, 0                                      // 0000000033C8: 7F240280
	v_mov_b32_e32 v147, 0                                      // 0000000033CC: 7F260280
	v_mov_b32_e32 v148, 0                                      // 0000000033D0: 7F280280
	v_mov_b32_e32 v149, 0                                      // 0000000033D4: 7F2A0280
	v_mov_b32_e32 v150, 0                                      // 0000000033D8: 7F2C0280
	v_mov_b32_e32 v151, 0                                      // 0000000033DC: 7F2E0280
	v_mov_b32_e32 v152, 0                                      // 0000000033E0: 7F300280
	v_mov_b32_e32 v153, 0                                      // 0000000033E4: 7F320280
	v_mov_b32_e32 v154, 0                                      // 0000000033E8: 7F340280
	v_mov_b32_e32 v155, 0                                      // 0000000033EC: 7F360280
	v_mov_b32_e32 v156, 0                                      // 0000000033F0: 7F380280
	v_mov_b32_e32 v157, 0                                      // 0000000033F4: 7F3A0280
	v_mov_b32_e32 v158, 0                                      // 0000000033F8: 7F3C0280
	v_mov_b32_e32 v159, 0                                      // 0000000033FC: 7F3E0280
	v_lshrrev_b32_e32 v44, 4, v0                               // 000000003400: 20580084
	v_mul_i32_i24_e32 v3, 34, v44                              // 000000003404: 0C0658A2
	v_and_b32_e32 v44, 15, v0                                  // 000000003408: 2658008F
	v_mul_i32_i24_e32 v45, 2, v44                              // 00000000340C: 0C5A5882
	v_add_u32_e32 v3, v45, v3                                  // 000000003410: 6806072D
	s_mul_i32 s60, s7, 0x88                                    // 000000003414: 923CFF07 00000088
	v_add_u32_e32 v3, s60, v3                                  // 00000000341C: 6806063C
	v_lshlrev_b32_e32 v3, 2, v3                                // 000000003420: 24060682
	v_lshrrev_b32_e32 v44, 1, v0                               // 000000003424: 20580081
	v_mul_i32_i24_e32 v4, 34, v44                              // 000000003428: 0C0858A2
	v_and_b32_e32 v45, 1, v0                                   // 00000000342C: 265A0081
	v_add_u32_e32 v4, v45, v4                                  // 000000003430: 6808092D
	s_mul_i32 s60, s7, 2                                       // 000000003434: 923C8207
	v_add_u32_e32 v4, s60, v4                                  // 000000003438: 6808083C
	v_lshlrev_b32_e32 v4, 2, v4                                // 00000000343C: 24080882
	s_waitcnt vmcnt(24)                                        // 000000003440: BF8C4F78
	s_barrier                                                  // 000000003444: BF8A0000
	ds_read_b128 v[160:163], v2                                // 000000003448: D9FE0000 A0000002
	ds_read_b128 v[164:167], v2 offset:64                      // 000000003450: D9FE0040 A4000002
	ds_read_b128 v[168:171], v2 offset:128                     // 000000003458: D9FE0080 A8000002
	ds_read_b128 v[172:175], v2 offset:192                     // 000000003460: D9FE00C0 AC000002
	ds_read_b128 v[176:179], v2 offset:1024                    // 000000003468: D9FE0400 B0000002
	ds_read_b128 v[180:183], v2 offset:1088                    // 000000003470: D9FE0440 B4000002
	ds_read_b128 v[184:187], v2 offset:1152                    // 000000003478: D9FE0480 B8000002
	ds_read_b128 v[188:191], v2 offset:1216                    // 000000003480: D9FE04C0 BC000002
	s_cmp_lt_i32 s7, 2                                         // 000000003488: BF048207
	s_cbranch_scc0 label_0D1C                                  // 00000000348C: BF840AB8

0000000000003490 <label_0264>:
	s_waitcnt vmcnt(8) lgkmcnt(0)                              // 000000003490: BF8C0078
	s_barrier                                                  // 000000003494: BF8A0000
	v_mfma_i32_16x16x32_i8 v[128:131], a[0:1], v[160:161], v[128:131]// 000000003498: D3D70080 0E034100
	v_mfma_i32_16x16x32_i8 v[128:131], a[2:3], v[162:163], v[128:131]// 0000000034A0: D3D70080 0E034502
	buffer_load_dwordx4 a[64:67], v32, s[24:27], 0 offen       // 0000000034A8: E05C1000 80864020
	v_mfma_i32_16x16x32_i8 v[128:131], a[4:5], v[164:165], v[128:131]// 0000000034B0: D3D70080 0E034904
	v_mfma_i32_16x16x32_i8 v[128:131], a[6:7], v[166:167], v[128:131]// 0000000034B8: D3D70080 0E034D06
	buffer_load_dword v24, s[20:23], 0 offen lds               // 0000000034C0: E0511000 80050018
	s_add_u32 m0, 0x100, s50                                   // 0000000034C8: 807C32FF 00000100
	v_mfma_i32_16x16x32_i8 v[128:131], a[8:9], v[168:169], v[128:131]// 0000000034D0: D3D70080 0E035108
	v_mfma_i32_16x16x32_i8 v[128:131], a[10:11], v[170:171], v[128:131]// 0000000034D8: D3D70080 0E03550A
	buffer_load_dwordx4 a[68:71], v32, s[24:27], 0 offen offset:1024// 0000000034E0: E05C1400 80864420
	v_mfma_i32_16x16x32_i8 v[128:131], a[12:13], v[172:173], v[128:131]// 0000000034E8: D3D70080 0E03590C
	v_mfma_i32_16x16x32_i8 v[128:131], a[14:15], v[174:175], v[128:131]// 0000000034F0: D3D70080 0E035D0E
	buffer_load_dword v25, s[20:23], 0 offen lds               // 0000000034F8: E0511000 80050019
	s_add_u32 m0, 0x200, s50                                   // 000000003500: 807C32FF 00000200
	v_mfma_i32_16x16x32_i8 v[132:135], a[0:1], v[176:177], v[132:135]// 000000003508: D3D70084 0E136100
	v_mfma_i32_16x16x32_i8 v[132:135], a[2:3], v[178:179], v[132:135]// 000000003510: D3D70084 0E136502
	buffer_load_dwordx4 a[72:75], v32, s[24:27], 0 offen offset:2048// 000000003518: E05C1800 80864820
	v_mfma_i32_16x16x32_i8 v[132:135], a[4:5], v[180:181], v[132:135]// 000000003520: D3D70084 0E136904
	v_mfma_i32_16x16x32_i8 v[132:135], a[6:7], v[182:183], v[132:135]// 000000003528: D3D70084 0E136D06
	buffer_load_dword v26, s[20:23], 0 offen lds               // 000000003530: E0511000 8005001A
	s_add_u32 m0, 0x300, s50                                   // 000000003538: 807C32FF 00000300
	v_mfma_i32_16x16x32_i8 v[132:135], a[8:9], v[184:185], v[132:135]// 000000003540: D3D70084 0E137108
	v_mfma_i32_16x16x32_i8 v[132:135], a[10:11], v[186:187], v[132:135]// 000000003548: D3D70084 0E13750A
	buffer_load_dwordx4 a[76:79], v32, s[24:27], 0 offen offset:3072// 000000003550: E05C1C00 80864C20
	v_mfma_i32_16x16x32_i8 v[132:135], a[12:13], v[188:189], v[132:135]// 000000003558: D3D70084 0E13790C
	v_mfma_i32_16x16x32_i8 v[132:135], a[14:15], v[190:191], v[132:135]// 000000003560: D3D70084 0E137D0E
	buffer_load_dword v27, s[20:23], 0 offen lds               // 000000003568: E0511000 8005001B
	s_add_u32 m0, 0x400, s50                                   // 000000003570: 807C32FF 00000400
	v_mfma_i32_16x16x32_i8 v[136:139], a[16:17], v[160:161], v[136:139]// 000000003578: D3D70088 0E234110
	v_mfma_i32_16x16x32_i8 v[136:139], a[18:19], v[162:163], v[136:139]// 000000003580: D3D70088 0E234512
	buffer_load_dwordx4 a[80:83], v33, s[24:27], 0 offen       // 000000003588: E05C1000 80865021
	v_mfma_i32_16x16x32_i8 v[136:139], a[20:21], v[164:165], v[136:139]// 000000003590: D3D70088 0E234914
	v_mfma_i32_16x16x32_i8 v[136:139], a[22:23], v[166:167], v[136:139]// 000000003598: D3D70088 0E234D16
	buffer_load_dword v28, s[20:23], 0 offen lds               // 0000000035A0: E0511000 8005001C
	s_add_u32 m0, 0x500, s50                                   // 0000000035A8: 807C32FF 00000500
	v_mfma_i32_16x16x32_i8 v[136:139], a[24:25], v[168:169], v[136:139]// 0000000035B0: D3D70088 0E235118
	v_mfma_i32_16x16x32_i8 v[136:139], a[26:27], v[170:171], v[136:139]// 0000000035B8: D3D70088 0E23551A
	buffer_load_dwordx4 a[84:87], v33, s[24:27], 0 offen offset:1024// 0000000035C0: E05C1400 80865421
	v_mfma_i32_16x16x32_i8 v[136:139], a[28:29], v[172:173], v[136:139]// 0000000035C8: D3D70088 0E23591C
	v_mfma_i32_16x16x32_i8 v[136:139], a[30:31], v[174:175], v[136:139]// 0000000035D0: D3D70088 0E235D1E
	buffer_load_dword v29, s[20:23], 0 offen lds               // 0000000035D8: E0511000 8005001D
	s_add_u32 m0, 0x600, s50                                   // 0000000035E0: 807C32FF 00000600
	v_mfma_i32_16x16x32_i8 v[140:143], a[16:17], v[176:177], v[140:143]// 0000000035E8: D3D7008C 0E336110
	v_mfma_i32_16x16x32_i8 v[140:143], a[18:19], v[178:179], v[140:143]// 0000000035F0: D3D7008C 0E336512
	buffer_load_dwordx4 a[88:91], v33, s[24:27], 0 offen offset:2048// 0000000035F8: E05C1800 80865821
	v_mfma_i32_16x16x32_i8 v[140:143], a[20:21], v[180:181], v[140:143]// 000000003600: D3D7008C 0E336914
	v_mfma_i32_16x16x32_i8 v[140:143], a[22:23], v[182:183], v[140:143]// 000000003608: D3D7008C 0E336D16
	buffer_load_dword v30, s[20:23], 0 offen lds               // 000000003610: E0511000 8005001E
	s_add_u32 m0, 0x700, s50                                   // 000000003618: 807C32FF 00000700
	v_mfma_i32_16x16x32_i8 v[140:143], a[24:25], v[184:185], v[140:143]// 000000003620: D3D7008C 0E337118
	v_mfma_i32_16x16x32_i8 v[140:143], a[26:27], v[186:187], v[140:143]// 000000003628: D3D7008C 0E33751A
	buffer_load_dwordx4 a[92:95], v33, s[24:27], 0 offen offset:3072// 000000003630: E05C1C00 80865C21
	v_mfma_i32_16x16x32_i8 v[140:143], a[28:29], v[188:189], v[140:143]// 000000003638: D3D7008C 0E33791C
	v_mfma_i32_16x16x32_i8 v[140:143], a[30:31], v[190:191], v[140:143]// 000000003640: D3D7008C 0E337D1E
	buffer_load_dword v31, s[20:23], 0 offen lds               // 000000003648: E0511000 8005001F
	s_add_u32 m0, 0, s51                                       // 000000003650: 807C3380
	s_waitcnt vmcnt(20)                                        // 000000003654: BF8C4F74
	v_mfma_i32_16x16x32_i8 v[144:147], a[32:33], v[160:161], v[144:147]// 000000003658: D3D70090 0E434120
	v_mfma_i32_16x16x32_i8 v[144:147], a[34:35], v[162:163], v[144:147]// 000000003660: D3D70090 0E434522
	buffer_load_dwordx4 a[96:99], v34, s[24:27], 0 offen       // 000000003668: E05C1000 80866022
	v_mfma_i32_16x16x32_i8 v[144:147], a[36:37], v[164:165], v[144:147]// 000000003670: D3D70090 0E434924
	v_mfma_i32_16x16x32_i8 v[144:147], a[38:39], v[166:167], v[144:147]// 000000003678: D3D70090 0E434D26
	ds_read_b128 v[192:195], v2 offset:8320                    // 000000003680: D9FE2080 C0000002
	v_mfma_i32_16x16x32_i8 v[144:147], a[40:41], v[168:169], v[144:147]// 000000003688: D3D70090 0E435128
	v_mfma_i32_16x16x32_i8 v[144:147], a[42:43], v[170:171], v[144:147]// 000000003690: D3D70090 0E43552A
	buffer_load_dwordx4 a[100:103], v34, s[24:27], 0 offen offset:1024// 000000003698: E05C1400 80866422
	v_mfma_i32_16x16x32_i8 v[144:147], a[44:45], v[172:173], v[144:147]// 0000000036A0: D3D70090 0E43592C
	v_mfma_i32_16x16x32_i8 v[144:147], a[46:47], v[174:175], v[144:147]// 0000000036A8: D3D70090 0E435D2E
	ds_read_b128 v[196:199], v2 offset:8384                    // 0000000036B0: D9FE20C0 C4000002
	v_mfma_i32_16x16x32_i8 v[148:151], a[32:33], v[176:177], v[148:151]// 0000000036B8: D3D70094 0E536120
	v_mfma_i32_16x16x32_i8 v[148:151], a[34:35], v[178:179], v[148:151]// 0000000036C0: D3D70094 0E536522
	buffer_load_dwordx4 a[104:107], v34, s[24:27], 0 offen offset:2048// 0000000036C8: E05C1800 80866822
	v_mfma_i32_16x16x32_i8 v[148:151], a[36:37], v[180:181], v[148:151]// 0000000036D0: D3D70094 0E536924
	v_mfma_i32_16x16x32_i8 v[148:151], a[38:39], v[182:183], v[148:151]// 0000000036D8: D3D70094 0E536D26
	ds_read_b128 v[200:203], v2 offset:8448                    // 0000000036E0: D9FE2100 C8000002
	v_mfma_i32_16x16x32_i8 v[148:151], a[40:41], v[184:185], v[148:151]// 0000000036E8: D3D70094 0E537128
	v_mfma_i32_16x16x32_i8 v[148:151], a[42:43], v[186:187], v[148:151]// 0000000036F0: D3D70094 0E53752A
	buffer_load_dwordx4 a[108:111], v34, s[24:27], 0 offen offset:3072// 0000000036F8: E05C1C00 80866C22
	v_mfma_i32_16x16x32_i8 v[148:151], a[44:45], v[188:189], v[148:151]// 000000003700: D3D70094 0E53792C
	v_mfma_i32_16x16x32_i8 v[148:151], a[46:47], v[190:191], v[148:151]// 000000003708: D3D70094 0E537D2E
	ds_read_b128 v[204:207], v2 offset:8512                    // 000000003710: D9FE2140 CC000002
	s_waitcnt vmcnt(20)                                        // 000000003718: BF8C4F74
	v_mfma_i32_16x16x32_i8 v[152:155], a[48:49], v[160:161], v[152:155]// 00000000371C: D3D70098 0E634130
	v_mfma_i32_16x16x32_i8 v[152:155], a[50:51], v[162:163], v[152:155]// 000000003724: D3D70098 0E634532
	buffer_load_dwordx4 a[112:115], v35, s[24:27], 0 offen     // 00000000372C: E05C1000 80867023
	v_mfma_i32_16x16x32_i8 v[152:155], a[52:53], v[164:165], v[152:155]// 000000003734: D3D70098 0E634934
	v_mfma_i32_16x16x32_i8 v[152:155], a[54:55], v[166:167], v[152:155]// 00000000373C: D3D70098 0E634D36
	ds_read_b128 v[208:211], v2 offset:9344                    // 000000003744: D9FE2480 D0000002
	v_mfma_i32_16x16x32_i8 v[152:155], a[56:57], v[168:169], v[152:155]// 00000000374C: D3D70098 0E635138
	v_mfma_i32_16x16x32_i8 v[152:155], a[58:59], v[170:171], v[152:155]// 000000003754: D3D70098 0E63553A
	buffer_load_dwordx4 a[116:119], v35, s[24:27], 0 offen offset:1024// 00000000375C: E05C1400 80867423
	v_mfma_i32_16x16x32_i8 v[152:155], a[60:61], v[172:173], v[152:155]// 000000003764: D3D70098 0E63593C
	v_mfma_i32_16x16x32_i8 v[152:155], a[62:63], v[174:175], v[152:155]// 00000000376C: D3D70098 0E635D3E
	ds_read_b128 v[212:215], v2 offset:9408                    // 000000003774: D9FE24C0 D4000002
	v_mfma_i32_16x16x32_i8 v[156:159], a[48:49], v[176:177], v[156:159]// 00000000377C: D3D7009C 0E736130
	v_mfma_i32_16x16x32_i8 v[156:159], a[50:51], v[178:179], v[156:159]// 000000003784: D3D7009C 0E736532
	buffer_load_dwordx4 a[120:123], v35, s[24:27], 0 offen offset:2048// 00000000378C: E05C1800 80867823
	v_mfma_i32_16x16x32_i8 v[156:159], a[52:53], v[180:181], v[156:159]// 000000003794: D3D7009C 0E736934
	v_mfma_i32_16x16x32_i8 v[156:159], a[54:55], v[182:183], v[156:159]// 00000000379C: D3D7009C 0E736D36
	ds_read_b128 v[216:219], v2 offset:9472                    // 0000000037A4: D9FE2500 D8000002
	v_mfma_i32_16x16x32_i8 v[156:159], a[56:57], v[184:185], v[156:159]// 0000000037AC: D3D7009C 0E737138
	v_mfma_i32_16x16x32_i8 v[156:159], a[58:59], v[186:187], v[156:159]// 0000000037B4: D3D7009C 0E73753A
	buffer_load_dwordx4 a[124:127], v35, s[24:27], 0 offen offset:3072// 0000000037BC: E05C1C00 80867C23
	v_mfma_i32_16x16x32_i8 v[156:159], a[60:61], v[188:189], v[156:159]// 0000000037C4: D3D7009C 0E73793C
	v_mfma_i32_16x16x32_i8 v[156:159], a[62:63], v[190:191], v[156:159]// 0000000037CC: D3D7009C 0E737D3E
	ds_read_b128 v[220:223], v2 offset:9536                    // 0000000037D4: D9FE2540 DC000002
	s_add_u32 s60, 0x300, s80                                  // 0000000037DC: 803C50FF 00000300
	s_cmp_lt_u32 s60, s81                                      // 0000000037E4: BF0A513C
	s_cselect_b32 s57, s57, 0                                  // 0000000037E8: 85398039
	s_add_u32 s60, 0x200, s80                                  // 0000000037EC: 803C50FF 00000200
	s_cmp_lt_u32 s60, s81                                      // 0000000037F4: BF0A513C
	s_cselect_b32 s58, s58, 0                                  // 0000000037F8: 853A803A
	s_add_u32 s20, s57, s20                                    // 0000000037FC: 80141439
	s_addc_u32 s21, 0, s21                                     // 000000003800: 82151580
	s_add_u32 s24, s58, s24                                    // 000000003804: 8018183A
	s_addc_u32 s25, 0, s25                                     // 000000003808: 82191980
	s_addk_i32 s80, 0x100                                      // 00000000380C: B7500100
	s_cmp_lt_i32 s80, s81                                      // 000000003810: BF045150
	s_cbranch_scc0 label_0429                                  // 000000003814: BF8400E3
	s_waitcnt vmcnt(8) lgkmcnt(0)                              // 000000003818: BF8C0078
	s_barrier                                                  // 00000000381C: BF8A0000
	v_mfma_i32_16x16x32_i8 v[128:131], a[64:65], v[192:193], v[128:131]// 000000003820: D3D70080 0E038140
	v_mfma_i32_16x16x32_i8 v[128:131], a[66:67], v[194:195], v[128:131]// 000000003828: D3D70080 0E038542
	buffer_load_dwordx4 a[0:3], v32, s[24:27], 0 offen         // 000000003830: E05C1000 80860020
	v_mfma_i32_16x16x32_i8 v[128:131], a[68:69], v[196:197], v[128:131]// 000000003838: D3D70080 0E038944
	v_mfma_i32_16x16x32_i8 v[128:131], a[70:71], v[198:199], v[128:131]// 000000003840: D3D70080 0E038D46
	buffer_load_dword v24, s[20:23], 0 offen lds               // 000000003848: E0511000 80050018
	s_add_u32 m0, 0x100, s51                                   // 000000003850: 807C33FF 00000100
	v_mfma_i32_16x16x32_i8 v[128:131], a[72:73], v[200:201], v[128:131]// 000000003858: D3D70080 0E039148
	v_mfma_i32_16x16x32_i8 v[128:131], a[74:75], v[202:203], v[128:131]// 000000003860: D3D70080 0E03954A
	buffer_load_dwordx4 a[4:7], v32, s[24:27], 0 offen offset:1024// 000000003868: E05C1400 80860420
	v_mfma_i32_16x16x32_i8 v[128:131], a[76:77], v[204:205], v[128:131]// 000000003870: D3D70080 0E03994C
	v_mfma_i32_16x16x32_i8 v[128:131], a[78:79], v[206:207], v[128:131]// 000000003878: D3D70080 0E039D4E
	buffer_load_dword v25, s[20:23], 0 offen lds               // 000000003880: E0511000 80050019
	s_add_u32 m0, 0x200, s51                                   // 000000003888: 807C33FF 00000200
	v_mfma_i32_16x16x32_i8 v[132:135], a[64:65], v[208:209], v[132:135]// 000000003890: D3D70084 0E13A140
	v_mfma_i32_16x16x32_i8 v[132:135], a[66:67], v[210:211], v[132:135]// 000000003898: D3D70084 0E13A542
	buffer_load_dwordx4 a[8:11], v32, s[24:27], 0 offen offset:2048// 0000000038A0: E05C1800 80860820
	v_mfma_i32_16x16x32_i8 v[132:135], a[68:69], v[212:213], v[132:135]// 0000000038A8: D3D70084 0E13A944
	v_mfma_i32_16x16x32_i8 v[132:135], a[70:71], v[214:215], v[132:135]// 0000000038B0: D3D70084 0E13AD46
	buffer_load_dword v26, s[20:23], 0 offen lds               // 0000000038B8: E0511000 8005001A
	s_add_u32 m0, 0x300, s51                                   // 0000000038C0: 807C33FF 00000300
	v_mfma_i32_16x16x32_i8 v[132:135], a[72:73], v[216:217], v[132:135]// 0000000038C8: D3D70084 0E13B148
	v_mfma_i32_16x16x32_i8 v[132:135], a[74:75], v[218:219], v[132:135]// 0000000038D0: D3D70084 0E13B54A
	buffer_load_dwordx4 a[12:15], v32, s[24:27], 0 offen offset:3072// 0000000038D8: E05C1C00 80860C20
	v_mfma_i32_16x16x32_i8 v[132:135], a[76:77], v[220:221], v[132:135]// 0000000038E0: D3D70084 0E13B94C
	v_mfma_i32_16x16x32_i8 v[132:135], a[78:79], v[222:223], v[132:135]// 0000000038E8: D3D70084 0E13BD4E
	buffer_load_dword v27, s[20:23], 0 offen lds               // 0000000038F0: E0511000 8005001B
	s_add_u32 m0, 0x400, s51                                   // 0000000038F8: 807C33FF 00000400
	v_mfma_i32_16x16x32_i8 v[136:139], a[80:81], v[192:193], v[136:139]// 000000003900: D3D70088 0E238150
	v_mfma_i32_16x16x32_i8 v[136:139], a[82:83], v[194:195], v[136:139]// 000000003908: D3D70088 0E238552
	buffer_load_dwordx4 a[16:19], v33, s[24:27], 0 offen       // 000000003910: E05C1000 80861021
	v_mfma_i32_16x16x32_i8 v[136:139], a[84:85], v[196:197], v[136:139]// 000000003918: D3D70088 0E238954
	v_mfma_i32_16x16x32_i8 v[136:139], a[86:87], v[198:199], v[136:139]// 000000003920: D3D70088 0E238D56
	buffer_load_dword v28, s[20:23], 0 offen lds               // 000000003928: E0511000 8005001C
	s_add_u32 m0, 0x500, s51                                   // 000000003930: 807C33FF 00000500
	v_mfma_i32_16x16x32_i8 v[136:139], a[88:89], v[200:201], v[136:139]// 000000003938: D3D70088 0E239158
	v_mfma_i32_16x16x32_i8 v[136:139], a[90:91], v[202:203], v[136:139]// 000000003940: D3D70088 0E23955A
	buffer_load_dwordx4 a[20:23], v33, s[24:27], 0 offen offset:1024// 000000003948: E05C1400 80861421
	v_mfma_i32_16x16x32_i8 v[136:139], a[92:93], v[204:205], v[136:139]// 000000003950: D3D70088 0E23995C
	v_mfma_i32_16x16x32_i8 v[136:139], a[94:95], v[206:207], v[136:139]// 000000003958: D3D70088 0E239D5E
	buffer_load_dword v29, s[20:23], 0 offen lds               // 000000003960: E0511000 8005001D
	s_add_u32 m0, 0x600, s51                                   // 000000003968: 807C33FF 00000600
	v_mfma_i32_16x16x32_i8 v[140:143], a[80:81], v[208:209], v[140:143]// 000000003970: D3D7008C 0E33A150
	v_mfma_i32_16x16x32_i8 v[140:143], a[82:83], v[210:211], v[140:143]// 000000003978: D3D7008C 0E33A552
	buffer_load_dwordx4 a[24:27], v33, s[24:27], 0 offen offset:2048// 000000003980: E05C1800 80861821
	v_mfma_i32_16x16x32_i8 v[140:143], a[84:85], v[212:213], v[140:143]// 000000003988: D3D7008C 0E33A954
	v_mfma_i32_16x16x32_i8 v[140:143], a[86:87], v[214:215], v[140:143]// 000000003990: D3D7008C 0E33AD56
	buffer_load_dword v30, s[20:23], 0 offen lds               // 000000003998: E0511000 8005001E
	s_add_u32 m0, 0x700, s51                                   // 0000000039A0: 807C33FF 00000700
	v_mfma_i32_16x16x32_i8 v[140:143], a[88:89], v[216:217], v[140:143]// 0000000039A8: D3D7008C 0E33B158
	v_mfma_i32_16x16x32_i8 v[140:143], a[90:91], v[218:219], v[140:143]// 0000000039B0: D3D7008C 0E33B55A
	buffer_load_dwordx4 a[28:31], v33, s[24:27], 0 offen offset:3072// 0000000039B8: E05C1C00 80861C21
	v_mfma_i32_16x16x32_i8 v[140:143], a[92:93], v[220:221], v[140:143]// 0000000039C0: D3D7008C 0E33B95C
	v_mfma_i32_16x16x32_i8 v[140:143], a[94:95], v[222:223], v[140:143]// 0000000039C8: D3D7008C 0E33BD5E
	buffer_load_dword v31, s[20:23], 0 offen lds               // 0000000039D0: E0511000 8005001F
	s_add_u32 m0, 0, s50                                       // 0000000039D8: 807C3280
	s_waitcnt vmcnt(20)                                        // 0000000039DC: BF8C4F74
	v_mfma_i32_16x16x32_i8 v[144:147], a[96:97], v[192:193], v[144:147]// 0000000039E0: D3D70090 0E438160
	v_mfma_i32_16x16x32_i8 v[144:147], a[98:99], v[194:195], v[144:147]// 0000000039E8: D3D70090 0E438562
	buffer_load_dwordx4 a[32:35], v34, s[24:27], 0 offen       // 0000000039F0: E05C1000 80862022
	v_mfma_i32_16x16x32_i8 v[144:147], a[100:101], v[196:197], v[144:147]// 0000000039F8: D3D70090 0E438964
	v_mfma_i32_16x16x32_i8 v[144:147], a[102:103], v[198:199], v[144:147]// 000000003A00: D3D70090 0E438D66
	ds_read_b128 v[160:163], v2                                // 000000003A08: D9FE0000 A0000002
	v_mfma_i32_16x16x32_i8 v[144:147], a[104:105], v[200:201], v[144:147]// 000000003A10: D3D70090 0E439168
	v_mfma_i32_16x16x32_i8 v[144:147], a[106:107], v[202:203], v[144:147]// 000000003A18: D3D70090 0E43956A
	buffer_load_dwordx4 a[36:39], v34, s[24:27], 0 offen offset:1024// 000000003A20: E05C1400 80862422
	v_mfma_i32_16x16x32_i8 v[144:147], a[108:109], v[204:205], v[144:147]// 000000003A28: D3D70090 0E43996C
	v_mfma_i32_16x16x32_i8 v[144:147], a[110:111], v[206:207], v[144:147]// 000000003A30: D3D70090 0E439D6E
	ds_read_b128 v[164:167], v2 offset:64                      // 000000003A38: D9FE0040 A4000002
	v_mfma_i32_16x16x32_i8 v[148:151], a[96:97], v[208:209], v[148:151]// 000000003A40: D3D70094 0E53A160
	v_mfma_i32_16x16x32_i8 v[148:151], a[98:99], v[210:211], v[148:151]// 000000003A48: D3D70094 0E53A562
	buffer_load_dwordx4 a[40:43], v34, s[24:27], 0 offen offset:2048// 000000003A50: E05C1800 80862822
	v_mfma_i32_16x16x32_i8 v[148:151], a[100:101], v[212:213], v[148:151]// 000000003A58: D3D70094 0E53A964
	v_mfma_i32_16x16x32_i8 v[148:151], a[102:103], v[214:215], v[148:151]// 000000003A60: D3D70094 0E53AD66
	ds_read_b128 v[168:171], v2 offset:128                     // 000000003A68: D9FE0080 A8000002
	v_mfma_i32_16x16x32_i8 v[148:151], a[104:105], v[216:217], v[148:151]// 000000003A70: D3D70094 0E53B168
	v_mfma_i32_16x16x32_i8 v[148:151], a[106:107], v[218:219], v[148:151]// 000000003A78: D3D70094 0E53B56A
	buffer_load_dwordx4 a[44:47], v34, s[24:27], 0 offen offset:3072// 000000003A80: E05C1C00 80862C22
	v_mfma_i32_16x16x32_i8 v[148:151], a[108:109], v[220:221], v[148:151]// 000000003A88: D3D70094 0E53B96C
	v_mfma_i32_16x16x32_i8 v[148:151], a[110:111], v[222:223], v[148:151]// 000000003A90: D3D70094 0E53BD6E
	ds_read_b128 v[172:175], v2 offset:192                     // 000000003A98: D9FE00C0 AC000002
	s_waitcnt vmcnt(20)                                        // 000000003AA0: BF8C4F74
	v_mfma_i32_16x16x32_i8 v[152:155], a[112:113], v[192:193], v[152:155]// 000000003AA4: D3D70098 0E638170
	v_mfma_i32_16x16x32_i8 v[152:155], a[114:115], v[194:195], v[152:155]// 000000003AAC: D3D70098 0E638572
	buffer_load_dwordx4 a[48:51], v35, s[24:27], 0 offen       // 000000003AB4: E05C1000 80863023
	v_mfma_i32_16x16x32_i8 v[152:155], a[116:117], v[196:197], v[152:155]// 000000003ABC: D3D70098 0E638974
	v_mfma_i32_16x16x32_i8 v[152:155], a[118:119], v[198:199], v[152:155]// 000000003AC4: D3D70098 0E638D76
	ds_read_b128 v[176:179], v2 offset:1024                    // 000000003ACC: D9FE0400 B0000002
	v_mfma_i32_16x16x32_i8 v[152:155], a[120:121], v[200:201], v[152:155]// 000000003AD4: D3D70098 0E639178
	v_mfma_i32_16x16x32_i8 v[152:155], a[122:123], v[202:203], v[152:155]// 000000003ADC: D3D70098 0E63957A
	buffer_load_dwordx4 a[52:55], v35, s[24:27], 0 offen offset:1024// 000000003AE4: E05C1400 80863423
	v_mfma_i32_16x16x32_i8 v[152:155], a[124:125], v[204:205], v[152:155]// 000000003AEC: D3D70098 0E63997C
	v_mfma_i32_16x16x32_i8 v[152:155], a[126:127], v[206:207], v[152:155]// 000000003AF4: D3D70098 0E639D7E
	ds_read_b128 v[180:183], v2 offset:1088                    // 000000003AFC: D9FE0440 B4000002
	v_mfma_i32_16x16x32_i8 v[156:159], a[112:113], v[208:209], v[156:159]// 000000003B04: D3D7009C 0E73A170
	v_mfma_i32_16x16x32_i8 v[156:159], a[114:115], v[210:211], v[156:159]// 000000003B0C: D3D7009C 0E73A572
	buffer_load_dwordx4 a[56:59], v35, s[24:27], 0 offen offset:2048// 000000003B14: E05C1800 80863823
	v_mfma_i32_16x16x32_i8 v[156:159], a[116:117], v[212:213], v[156:159]// 000000003B1C: D3D7009C 0E73A974
	v_mfma_i32_16x16x32_i8 v[156:159], a[118:119], v[214:215], v[156:159]// 000000003B24: D3D7009C 0E73AD76
	ds_read_b128 v[184:187], v2 offset:1152                    // 000000003B2C: D9FE0480 B8000002
	v_mfma_i32_16x16x32_i8 v[156:159], a[120:121], v[216:217], v[156:159]// 000000003B34: D3D7009C 0E73B178
	v_mfma_i32_16x16x32_i8 v[156:159], a[122:123], v[218:219], v[156:159]// 000000003B3C: D3D7009C 0E73B57A
	buffer_load_dwordx4 a[60:63], v35, s[24:27], 0 offen offset:3072// 000000003B44: E05C1C00 80863C23
	v_mfma_i32_16x16x32_i8 v[156:159], a[124:125], v[220:221], v[156:159]// 000000003B4C: D3D7009C 0E73B97C
	v_mfma_i32_16x16x32_i8 v[156:159], a[126:127], v[222:223], v[156:159]// 000000003B54: D3D7009C 0E73BD7E
	ds_read_b128 v[188:191], v2 offset:1216                    // 000000003B5C: D9FE04C0 BC000002
	s_add_u32 s60, 0x300, s80                                  // 000000003B64: 803C50FF 00000300
	s_cmp_lt_u32 s60, s81                                      // 000000003B6C: BF0A513C
	s_cselect_b32 s57, s57, 0                                  // 000000003B70: 85398039
	s_add_u32 s60, 0x200, s80                                  // 000000003B74: 803C50FF 00000200
	s_cmp_lt_u32 s60, s81                                      // 000000003B7C: BF0A513C
	s_cselect_b32 s58, s58, 0                                  // 000000003B80: 853A803A
	s_add_u32 s20, s57, s20                                    // 000000003B84: 80141439
	s_addc_u32 s21, 0, s21                                     // 000000003B88: 82151580
	s_add_u32 s24, s58, s24                                    // 000000003B8C: 8018183A
	s_addc_u32 s25, 0, s25                                     // 000000003B90: 82191980
	s_addk_i32 s80, 0x100                                      // 000000003B94: B7500100
	s_cmp_lt_i32 s80, s81                                      // 000000003B98: BF045150
	s_cbranch_scc0 label_0429                                  // 000000003B9C: BF840001
	s_branch label_0264                                        // 000000003BA0: BF82FE3B

0000000000003ba4 <label_0429>:
	s_mov_b32 s36, -1                                          // 000000003BA4: BEA400C1
	s_mov_b32 s37, -1                                          // 000000003BA8: BEA500C1
	s_mov_b64 s[60:61], 0                                      // 000000003BAC: BEBC0180
	s_cmp_lt_u32 s82, s66                                      // 000000003BB0: BF0A4252
	s_cselect_b64 s[20:21], s[36:37], s[60:61]                 // 000000003BB4: 85943C24
	s_cmp_lt_u32 s83, s66                                      // 000000003BB8: BF0A4253
	s_cselect_b64 s[22:23], s[36:37], s[60:61]                 // 000000003BBC: 85963C24
	s_cmp_lt_u32 s84, s66                                      // 000000003BC0: BF0A4254
	s_cselect_b64 s[24:25], s[36:37], s[60:61]                 // 000000003BC4: 85983C24
	s_cmp_lt_u32 s85, s66                                      // 000000003BC8: BF0A4255
	s_cselect_b64 s[26:27], s[36:37], s[60:61]                 // 000000003BCC: 859A3C24
	s_cmp_lt_u32 s86, s66                                      // 000000003BD0: BF0A4256
	s_cselect_b64 s[28:29], s[36:37], s[60:61]                 // 000000003BD4: 859C3C24
	s_cmp_lt_u32 s87, s66                                      // 000000003BD8: BF0A4257
	s_cselect_b64 s[30:31], s[36:37], s[60:61]                 // 000000003BDC: 859E3C24
	s_cmp_lt_u32 s88, s66                                      // 000000003BE0: BF0A4258
	s_cselect_b64 s[32:33], s[36:37], s[60:61]                 // 000000003BE4: 85A03C24
	s_cmp_lt_u32 s89, s66                                      // 000000003BE8: BF0A4259
	s_cselect_b64 s[34:35], s[36:37], s[60:61]                 // 000000003BEC: 85A23C24
	v_cvt_f32_i32_e32 v128, v128                               // 000000003BF0: 7F000B80
	v_cvt_f32_i32_e32 v129, v129                               // 000000003BF4: 7F020B81
	v_cvt_f32_i32_e32 v130, v130                               // 000000003BF8: 7F040B82
	v_cvt_f32_i32_e32 v131, v131                               // 000000003BFC: 7F060B83
	v_mul_f32_e32 v128, v13, v128                              // 000000003C00: 0B01010D
	v_mul_f32_e32 v129, v13, v129                              // 000000003C04: 0B03030D
	v_mul_f32_e32 v130, v13, v130                              // 000000003C08: 0B05050D
	v_mul_f32_e32 v131, v13, v131                              // 000000003C0C: 0B07070D
	v_mul_f32_dpp v128, v15, v128 row_newbcast:0 row_mask:0xf bank_mask:0xf// 000000003C10: 0B0100FA FF01500F
	v_mul_f32_dpp v129, v15, v129 row_newbcast:1 row_mask:0xf bank_mask:0xf// 000000003C18: 0B0302FA FF01510F
	v_mul_f32_dpp v130, v15, v130 row_newbcast:2 row_mask:0xf bank_mask:0xf// 000000003C20: 0B0504FA FF01520F
	v_mul_f32_dpp v131, v15, v131 row_newbcast:3 row_mask:0xf bank_mask:0xf// 000000003C28: 0B0706FA FF01530F
	v_cvt_f32_i32_e32 v132, v132                               // 000000003C30: 7F080B84
	v_cvt_f32_i32_e32 v133, v133                               // 000000003C34: 7F0A0B85
	v_cvt_f32_i32_e32 v134, v134                               // 000000003C38: 7F0C0B86
	v_cvt_f32_i32_e32 v135, v135                               // 000000003C3C: 7F0E0B87
	v_mul_f32_e32 v132, v14, v132                              // 000000003C40: 0B09090E
	v_mul_f32_e32 v133, v14, v133                              // 000000003C44: 0B0B0B0E
	v_mul_f32_e32 v134, v14, v134                              // 000000003C48: 0B0D0D0E
	v_mul_f32_e32 v135, v14, v135                              // 000000003C4C: 0B0F0F0E
	v_mul_f32_dpp v132, v15, v132 row_newbcast:0 row_mask:0xf bank_mask:0xf// 000000003C50: 0B0908FA FF01500F
	v_mul_f32_dpp v133, v15, v133 row_newbcast:1 row_mask:0xf bank_mask:0xf// 000000003C58: 0B0B0AFA FF01510F
	v_mul_f32_dpp v134, v15, v134 row_newbcast:2 row_mask:0xf bank_mask:0xf// 000000003C60: 0B0D0CFA FF01520F
	v_mul_f32_dpp v135, v15, v135 row_newbcast:3 row_mask:0xf bank_mask:0xf// 000000003C68: 0B0F0EFA FF01530F
	v_cvt_f32_i32_e32 v136, v136                               // 000000003C70: 7F100B88
	v_cvt_f32_i32_e32 v137, v137                               // 000000003C74: 7F120B89
	v_cvt_f32_i32_e32 v138, v138                               // 000000003C78: 7F140B8A
	v_cvt_f32_i32_e32 v139, v139                               // 000000003C7C: 7F160B8B
	v_mul_f32_e32 v136, v13, v136                              // 000000003C80: 0B11110D
	v_mul_f32_e32 v137, v13, v137                              // 000000003C84: 0B13130D
	v_mul_f32_e32 v138, v13, v138                              // 000000003C88: 0B15150D
	v_mul_f32_e32 v139, v13, v139                              // 000000003C8C: 0B17170D
	v_mul_f32_dpp v136, v15, v136 row_newbcast:4 row_mask:0xf bank_mask:0xf// 000000003C90: 0B1110FA FF01540F
	v_mul_f32_dpp v137, v15, v137 row_newbcast:5 row_mask:0xf bank_mask:0xf// 000000003C98: 0B1312FA FF01550F
	v_mul_f32_dpp v138, v15, v138 row_newbcast:6 row_mask:0xf bank_mask:0xf// 000000003CA0: 0B1514FA FF01560F
	v_mul_f32_dpp v139, v15, v139 row_newbcast:7 row_mask:0xf bank_mask:0xf// 000000003CA8: 0B1716FA FF01570F
	v_cvt_f32_i32_e32 v140, v140                               // 000000003CB0: 7F180B8C
	v_cvt_f32_i32_e32 v141, v141                               // 000000003CB4: 7F1A0B8D
	v_cvt_f32_i32_e32 v142, v142                               // 000000003CB8: 7F1C0B8E
	v_cvt_f32_i32_e32 v143, v143                               // 000000003CBC: 7F1E0B8F
	v_mul_f32_e32 v140, v14, v140                              // 000000003CC0: 0B19190E
	v_mul_f32_e32 v141, v14, v141                              // 000000003CC4: 0B1B1B0E
	v_mul_f32_e32 v142, v14, v142                              // 000000003CC8: 0B1D1D0E
	v_mul_f32_e32 v143, v14, v143                              // 000000003CCC: 0B1F1F0E
	v_mul_f32_dpp v140, v15, v140 row_newbcast:4 row_mask:0xf bank_mask:0xf// 000000003CD0: 0B1918FA FF01540F
	v_mul_f32_dpp v141, v15, v141 row_newbcast:5 row_mask:0xf bank_mask:0xf// 000000003CD8: 0B1B1AFA FF01550F
	v_mul_f32_dpp v142, v15, v142 row_newbcast:6 row_mask:0xf bank_mask:0xf// 000000003CE0: 0B1D1CFA FF01560F
	v_mul_f32_dpp v143, v15, v143 row_newbcast:7 row_mask:0xf bank_mask:0xf// 000000003CE8: 0B1F1EFA FF01570F
	v_cvt_f32_i32_e32 v144, v144                               // 000000003CF0: 7F200B90
	v_cvt_f32_i32_e32 v145, v145                               // 000000003CF4: 7F220B91
	v_cvt_f32_i32_e32 v146, v146                               // 000000003CF8: 7F240B92
	v_cvt_f32_i32_e32 v147, v147                               // 000000003CFC: 7F260B93
	v_mul_f32_e32 v144, v13, v144                              // 000000003D00: 0B21210D
	v_mul_f32_e32 v145, v13, v145                              // 000000003D04: 0B23230D
	v_mul_f32_e32 v146, v13, v146                              // 000000003D08: 0B25250D
	v_mul_f32_e32 v147, v13, v147                              // 000000003D0C: 0B27270D
	v_mul_f32_dpp v144, v15, v144 row_newbcast:8 row_mask:0xf bank_mask:0xf// 000000003D10: 0B2120FA FF01580F
	v_mul_f32_dpp v145, v15, v145 row_newbcast:9 row_mask:0xf bank_mask:0xf// 000000003D18: 0B2322FA FF01590F
	v_mul_f32_dpp v146, v15, v146 row_newbcast:10 row_mask:0xf bank_mask:0xf// 000000003D20: 0B2524FA FF015A0F
	v_mul_f32_dpp v147, v15, v147 row_newbcast:11 row_mask:0xf bank_mask:0xf// 000000003D28: 0B2726FA FF015B0F
	v_cvt_f32_i32_e32 v148, v148                               // 000000003D30: 7F280B94
	v_cvt_f32_i32_e32 v149, v149                               // 000000003D34: 7F2A0B95
	v_cvt_f32_i32_e32 v150, v150                               // 000000003D38: 7F2C0B96
	v_cvt_f32_i32_e32 v151, v151                               // 000000003D3C: 7F2E0B97
	v_mul_f32_e32 v148, v14, v148                              // 000000003D40: 0B29290E
	v_mul_f32_e32 v149, v14, v149                              // 000000003D44: 0B2B2B0E
	v_mul_f32_e32 v150, v14, v150                              // 000000003D48: 0B2D2D0E
	v_mul_f32_e32 v151, v14, v151                              // 000000003D4C: 0B2F2F0E
	v_mul_f32_dpp v148, v15, v148 row_newbcast:8 row_mask:0xf bank_mask:0xf// 000000003D50: 0B2928FA FF01580F
	v_mul_f32_dpp v149, v15, v149 row_newbcast:9 row_mask:0xf bank_mask:0xf// 000000003D58: 0B2B2AFA FF01590F
	v_mul_f32_dpp v150, v15, v150 row_newbcast:10 row_mask:0xf bank_mask:0xf// 000000003D60: 0B2D2CFA FF015A0F
	v_mul_f32_dpp v151, v15, v151 row_newbcast:11 row_mask:0xf bank_mask:0xf// 000000003D68: 0B2F2EFA FF015B0F
	v_cvt_f32_i32_e32 v152, v152                               // 000000003D70: 7F300B98
	v_cvt_f32_i32_e32 v153, v153                               // 000000003D74: 7F320B99
	v_cvt_f32_i32_e32 v154, v154                               // 000000003D78: 7F340B9A
	v_cvt_f32_i32_e32 v155, v155                               // 000000003D7C: 7F360B9B
	v_mul_f32_e32 v152, v13, v152                              // 000000003D80: 0B31310D
	v_mul_f32_e32 v153, v13, v153                              // 000000003D84: 0B33330D
	v_mul_f32_e32 v154, v13, v154                              // 000000003D88: 0B35350D
	v_mul_f32_e32 v155, v13, v155                              // 000000003D8C: 0B37370D
	v_mul_f32_dpp v152, v15, v152 row_newbcast:12 row_mask:0xf bank_mask:0xf// 000000003D90: 0B3130FA FF015C0F
	v_mul_f32_dpp v153, v15, v153 row_newbcast:13 row_mask:0xf bank_mask:0xf// 000000003D98: 0B3332FA FF015D0F
	v_mul_f32_dpp v154, v15, v154 row_newbcast:14 row_mask:0xf bank_mask:0xf// 000000003DA0: 0B3534FA FF015E0F
	v_mul_f32_dpp v155, v15, v155 row_newbcast:15 row_mask:0xf bank_mask:0xf// 000000003DA8: 0B3736FA FF015F0F
	v_cvt_f32_i32_e32 v156, v156                               // 000000003DB0: 7F380B9C
	v_cvt_f32_i32_e32 v157, v157                               // 000000003DB4: 7F3A0B9D
	v_cvt_f32_i32_e32 v158, v158                               // 000000003DB8: 7F3C0B9E
	v_cvt_f32_i32_e32 v159, v159                               // 000000003DBC: 7F3E0B9F
	v_mul_f32_e32 v156, v14, v156                              // 000000003DC0: 0B39390E
	v_mul_f32_e32 v157, v14, v157                              // 000000003DC4: 0B3B3B0E
	v_mul_f32_e32 v158, v14, v158                              // 000000003DC8: 0B3D3D0E
	v_mul_f32_e32 v159, v14, v159                              // 000000003DCC: 0B3F3F0E
	v_mul_f32_dpp v156, v15, v156 row_newbcast:12 row_mask:0xf bank_mask:0xf// 000000003DD0: 0B3938FA FF015C0F
	v_mul_f32_dpp v157, v15, v157 row_newbcast:13 row_mask:0xf bank_mask:0xf// 000000003DD8: 0B3B3AFA FF015D0F
	v_mul_f32_dpp v158, v15, v158 row_newbcast:14 row_mask:0xf bank_mask:0xf// 000000003DE0: 0B3D3CFA FF015E0F
	v_mul_f32_dpp v159, v15, v159 row_newbcast:15 row_mask:0xf bank_mask:0xf// 000000003DE8: 0B3F3EFA FF015F0F
	s_waitcnt vmcnt(12)                                        // 000000003DF0: BF8C0F7C
	buffer_load_dwordx4 a[0:3], v36, s[12:15], 0 offen         // 000000003DF4: E05C1000 80830024
	v_mul_f32_e32 v44, v128, v128                              // 000000003DFC: 0A590180
	v_mul_f32_e32 v45, v129, v129                              // 000000003E00: 0A5B0381
	v_mul_f32_e32 v46, v130, v130                              // 000000003E04: 0A5D0582
	v_mul_f32_e32 v47, v131, v131                              // 000000003E08: 0A5F0783
	v_fma_f32 v44, v44, s77, v1                                // 000000003E0C: D1CB002C 04049B2C
	v_fma_f32 v45, v45, s77, v1                                // 000000003E14: D1CB002D 04049B2D
	v_fma_f32 v46, v46, s77, v1                                // 000000003E1C: D1CB002E 04049B2E
	v_fma_f32 v47, v47, s77, v1                                // 000000003E24: D1CB002F 04049B2F
	v_mul_f32_e32 v44, v44, v128                               // 000000003E2C: 0A59012C
	v_mul_f32_e32 v45, v45, v129                               // 000000003E30: 0A5B032D
	v_mul_f32_e32 v46, v46, v130                               // 000000003E34: 0A5D052E
	v_mul_f32_e32 v47, v47, v131                               // 000000003E38: 0A5F072F
	v_mul_f32_e64 v44, v44, s6                                 // 000000003E3C: D105002C 00000D2C
	v_mul_f32_e64 v45, v45, s6                                 // 000000003E44: D105002D 00000D2D
	v_mul_f32_e64 v46, v46, s6                                 // 000000003E4C: D105002E 00000D2E
	v_mul_f32_e64 v47, v47, s6                                 // 000000003E54: D105002F 00000D2F
	v_exp_f32_e32 v44, v44                                     // 000000003E5C: 7E58412C
	v_exp_f32_e32 v45, v45                                     // 000000003E60: 7E5A412D
	v_exp_f32_e32 v46, v46                                     // 000000003E64: 7E5C412E
	v_exp_f32_e32 v47, v47                                     // 000000003E68: 7E5E412F
	buffer_load_dwordx4 a[4:7], v37, s[12:15], 0 offen         // 000000003E6C: E05C1000 80830425
	v_add_f32_e64 v44, v44, 1.0                                // 000000003E74: D101002C 0001E52C
	v_add_f32_e64 v45, v45, 1.0                                // 000000003E7C: D101002D 0001E52D
	v_add_f32_e64 v46, v46, 1.0                                // 000000003E84: D101002E 0001E52E
	v_add_f32_e64 v47, v47, 1.0                                // 000000003E8C: D101002F 0001E52F
	v_rcp_f32_e32 v44, v44                                     // 000000003E94: 7E58452C
	v_rcp_f32_e32 v45, v45                                     // 000000003E98: 7E5A452D
	v_rcp_f32_e32 v46, v46                                     // 000000003E9C: 7E5C452E
	v_rcp_f32_e32 v47, v47                                     // 000000003EA0: 7E5E452F
	v_mul_f32_e32 v128, v128, v44                              // 000000003EA4: 0B005980
	v_mul_f32_e32 v129, v129, v45                              // 000000003EA8: 0B025B81
	v_mul_f32_e32 v130, v130, v46                              // 000000003EAC: 0B045D82
	v_mul_f32_e32 v131, v131, v47                              // 000000003EB0: 0B065F83
	buffer_load_dwordx4 a[8:11], v38, s[12:15], 0 offen        // 000000003EB4: E05C1000 80830826
	v_mul_f32_e32 v44, v132, v132                              // 000000003EBC: 0A590984
	v_mul_f32_e32 v45, v133, v133                              // 000000003EC0: 0A5B0B85
	v_mul_f32_e32 v46, v134, v134                              // 000000003EC4: 0A5D0D86
	v_mul_f32_e32 v47, v135, v135                              // 000000003EC8: 0A5F0F87
	v_fma_f32 v44, v44, s77, v1                                // 000000003ECC: D1CB002C 04049B2C
	v_fma_f32 v45, v45, s77, v1                                // 000000003ED4: D1CB002D 04049B2D
	v_fma_f32 v46, v46, s77, v1                                // 000000003EDC: D1CB002E 04049B2E
	v_fma_f32 v47, v47, s77, v1                                // 000000003EE4: D1CB002F 04049B2F
	v_mul_f32_e32 v44, v44, v132                               // 000000003EEC: 0A59092C
	v_mul_f32_e32 v45, v45, v133                               // 000000003EF0: 0A5B0B2D
	v_mul_f32_e32 v46, v46, v134                               // 000000003EF4: 0A5D0D2E
	v_mul_f32_e32 v47, v47, v135                               // 000000003EF8: 0A5F0F2F
	v_mul_f32_e64 v44, v44, s6                                 // 000000003EFC: D105002C 00000D2C
	v_mul_f32_e64 v45, v45, s6                                 // 000000003F04: D105002D 00000D2D
	v_mul_f32_e64 v46, v46, s6                                 // 000000003F0C: D105002E 00000D2E
	v_mul_f32_e64 v47, v47, s6                                 // 000000003F14: D105002F 00000D2F
	v_exp_f32_e32 v44, v44                                     // 000000003F1C: 7E58412C
	v_exp_f32_e32 v45, v45                                     // 000000003F20: 7E5A412D
	v_exp_f32_e32 v46, v46                                     // 000000003F24: 7E5C412E
	v_exp_f32_e32 v47, v47                                     // 000000003F28: 7E5E412F
	buffer_load_dwordx4 a[12:15], v39, s[12:15], 0 offen       // 000000003F2C: E05C1000 80830C27
	s_add_u32 s12, s78, s12                                    // 000000003F34: 800C0C4E
	s_addc_u32 s13, 0, s13                                     // 000000003F38: 820D0D80
	v_add_f32_e64 v44, v44, 1.0                                // 000000003F3C: D101002C 0001E52C
	v_add_f32_e64 v45, v45, 1.0                                // 000000003F44: D101002D 0001E52D
	v_add_f32_e64 v46, v46, 1.0                                // 000000003F4C: D101002E 0001E52E
	v_add_f32_e64 v47, v47, 1.0                                // 000000003F54: D101002F 0001E52F
	v_rcp_f32_e32 v44, v44                                     // 000000003F5C: 7E58452C
	v_rcp_f32_e32 v45, v45                                     // 000000003F60: 7E5A452D
	v_rcp_f32_e32 v46, v46                                     // 000000003F64: 7E5C452E
	v_rcp_f32_e32 v47, v47                                     // 000000003F68: 7E5E452F
	v_mul_f32_e32 v132, v132, v44                              // 000000003F6C: 0B085984
	v_mul_f32_e32 v133, v133, v45                              // 000000003F70: 0B0A5B85
	v_mul_f32_e32 v134, v134, v46                              // 000000003F74: 0B0C5D86
	v_mul_f32_e32 v135, v135, v47                              // 000000003F78: 0B0E5F87
	s_waitcnt vmcnt(12)                                        // 000000003F7C: BF8C0F7C
	buffer_load_dwordx4 a[16:19], v36, s[12:15], 0 offen       // 000000003F80: E05C1000 80831024
	v_mul_f32_e32 v44, v136, v136                              // 000000003F88: 0A591188
	v_mul_f32_e32 v45, v137, v137                              // 000000003F8C: 0A5B1389
	v_mul_f32_e32 v46, v138, v138                              // 000000003F90: 0A5D158A
	v_mul_f32_e32 v47, v139, v139                              // 000000003F94: 0A5F178B
	v_fma_f32 v44, v44, s77, v1                                // 000000003F98: D1CB002C 04049B2C
	v_fma_f32 v45, v45, s77, v1                                // 000000003FA0: D1CB002D 04049B2D
	v_fma_f32 v46, v46, s77, v1                                // 000000003FA8: D1CB002E 04049B2E
	v_fma_f32 v47, v47, s77, v1                                // 000000003FB0: D1CB002F 04049B2F
	v_mul_f32_e32 v44, v44, v136                               // 000000003FB8: 0A59112C
	v_mul_f32_e32 v45, v45, v137                               // 000000003FBC: 0A5B132D
	v_mul_f32_e32 v46, v46, v138                               // 000000003FC0: 0A5D152E
	v_mul_f32_e32 v47, v47, v139                               // 000000003FC4: 0A5F172F
	v_mul_f32_e64 v44, v44, s6                                 // 000000003FC8: D105002C 00000D2C
	v_mul_f32_e64 v45, v45, s6                                 // 000000003FD0: D105002D 00000D2D
	v_mul_f32_e64 v46, v46, s6                                 // 000000003FD8: D105002E 00000D2E
	v_mul_f32_e64 v47, v47, s6                                 // 000000003FE0: D105002F 00000D2F
	v_exp_f32_e32 v44, v44                                     // 000000003FE8: 7E58412C
	v_exp_f32_e32 v45, v45                                     // 000000003FEC: 7E5A412D
	v_exp_f32_e32 v46, v46                                     // 000000003FF0: 7E5C412E
	v_exp_f32_e32 v47, v47                                     // 000000003FF4: 7E5E412F
	buffer_load_dwordx4 a[20:23], v37, s[12:15], 0 offen       // 000000003FF8: E05C1000 80831425
	v_add_f32_e64 v44, v44, 1.0                                // 000000004000: D101002C 0001E52C
	v_add_f32_e64 v45, v45, 1.0                                // 000000004008: D101002D 0001E52D
	v_add_f32_e64 v46, v46, 1.0                                // 000000004010: D101002E 0001E52E
	v_add_f32_e64 v47, v47, 1.0                                // 000000004018: D101002F 0001E52F
	v_rcp_f32_e32 v44, v44                                     // 000000004020: 7E58452C
	v_rcp_f32_e32 v45, v45                                     // 000000004024: 7E5A452D
	v_rcp_f32_e32 v46, v46                                     // 000000004028: 7E5C452E
	v_rcp_f32_e32 v47, v47                                     // 00000000402C: 7E5E452F
	v_mul_f32_e32 v136, v136, v44                              // 000000004030: 0B105988
	v_mul_f32_e32 v137, v137, v45                              // 000000004034: 0B125B89
	v_mul_f32_e32 v138, v138, v46                              // 000000004038: 0B145D8A
	v_mul_f32_e32 v139, v139, v47                              // 00000000403C: 0B165F8B
	buffer_load_dwordx4 a[24:27], v38, s[12:15], 0 offen       // 000000004040: E05C1000 80831826
	v_mul_f32_e32 v44, v140, v140                              // 000000004048: 0A59198C
	v_mul_f32_e32 v45, v141, v141                              // 00000000404C: 0A5B1B8D
	v_mul_f32_e32 v46, v142, v142                              // 000000004050: 0A5D1D8E
	v_mul_f32_e32 v47, v143, v143                              // 000000004054: 0A5F1F8F
	v_fma_f32 v44, v44, s77, v1                                // 000000004058: D1CB002C 04049B2C
	v_fma_f32 v45, v45, s77, v1                                // 000000004060: D1CB002D 04049B2D
	v_fma_f32 v46, v46, s77, v1                                // 000000004068: D1CB002E 04049B2E
	v_fma_f32 v47, v47, s77, v1                                // 000000004070: D1CB002F 04049B2F
	v_mul_f32_e32 v44, v44, v140                               // 000000004078: 0A59192C
	v_mul_f32_e32 v45, v45, v141                               // 00000000407C: 0A5B1B2D
	v_mul_f32_e32 v46, v46, v142                               // 000000004080: 0A5D1D2E
	v_mul_f32_e32 v47, v47, v143                               // 000000004084: 0A5F1F2F
	v_mul_f32_e64 v44, v44, s6                                 // 000000004088: D105002C 00000D2C
	v_mul_f32_e64 v45, v45, s6                                 // 000000004090: D105002D 00000D2D
	v_mul_f32_e64 v46, v46, s6                                 // 000000004098: D105002E 00000D2E
	v_mul_f32_e64 v47, v47, s6                                 // 0000000040A0: D105002F 00000D2F
	v_exp_f32_e32 v44, v44                                     // 0000000040A8: 7E58412C
	v_exp_f32_e32 v45, v45                                     // 0000000040AC: 7E5A412D
	v_exp_f32_e32 v46, v46                                     // 0000000040B0: 7E5C412E
	v_exp_f32_e32 v47, v47                                     // 0000000040B4: 7E5E412F
	buffer_load_dwordx4 a[28:31], v39, s[12:15], 0 offen       // 0000000040B8: E05C1000 80831C27
	s_add_u32 s12, s78, s12                                    // 0000000040C0: 800C0C4E
	s_addc_u32 s13, 0, s13                                     // 0000000040C4: 820D0D80
	v_add_f32_e64 v44, v44, 1.0                                // 0000000040C8: D101002C 0001E52C
	v_add_f32_e64 v45, v45, 1.0                                // 0000000040D0: D101002D 0001E52D
	v_add_f32_e64 v46, v46, 1.0                                // 0000000040D8: D101002E 0001E52E
	v_add_f32_e64 v47, v47, 1.0                                // 0000000040E0: D101002F 0001E52F
	v_rcp_f32_e32 v44, v44                                     // 0000000040E8: 7E58452C
	v_rcp_f32_e32 v45, v45                                     // 0000000040EC: 7E5A452D
	v_rcp_f32_e32 v46, v46                                     // 0000000040F0: 7E5C452E
	v_rcp_f32_e32 v47, v47                                     // 0000000040F4: 7E5E452F
	v_mul_f32_e32 v140, v140, v44                              // 0000000040F8: 0B18598C
	v_mul_f32_e32 v141, v141, v45                              // 0000000040FC: 0B1A5B8D
	v_mul_f32_e32 v142, v142, v46                              // 000000004100: 0B1C5D8E
	v_mul_f32_e32 v143, v143, v47                              // 000000004104: 0B1E5F8F
	s_waitcnt vmcnt(12)                                        // 000000004108: BF8C0F7C
	buffer_load_dwordx4 a[32:35], v36, s[12:15], 0 offen       // 00000000410C: E05C1000 80832024
	v_mul_f32_e32 v44, v144, v144                              // 000000004114: 0A592190
	v_mul_f32_e32 v45, v145, v145                              // 000000004118: 0A5B2391
	v_mul_f32_e32 v46, v146, v146                              // 00000000411C: 0A5D2592
	v_mul_f32_e32 v47, v147, v147                              // 000000004120: 0A5F2793
	v_fma_f32 v44, v44, s77, v1                                // 000000004124: D1CB002C 04049B2C
	v_fma_f32 v45, v45, s77, v1                                // 00000000412C: D1CB002D 04049B2D
	v_fma_f32 v46, v46, s77, v1                                // 000000004134: D1CB002E 04049B2E
	v_fma_f32 v47, v47, s77, v1                                // 00000000413C: D1CB002F 04049B2F
	v_mul_f32_e32 v44, v44, v144                               // 000000004144: 0A59212C
	v_mul_f32_e32 v45, v45, v145                               // 000000004148: 0A5B232D
	v_mul_f32_e32 v46, v46, v146                               // 00000000414C: 0A5D252E
	v_mul_f32_e32 v47, v47, v147                               // 000000004150: 0A5F272F
	v_mul_f32_e64 v44, v44, s6                                 // 000000004154: D105002C 00000D2C
	v_mul_f32_e64 v45, v45, s6                                 // 00000000415C: D105002D 00000D2D
	v_mul_f32_e64 v46, v46, s6                                 // 000000004164: D105002E 00000D2E
	v_mul_f32_e64 v47, v47, s6                                 // 00000000416C: D105002F 00000D2F
	v_exp_f32_e32 v44, v44                                     // 000000004174: 7E58412C
	v_exp_f32_e32 v45, v45                                     // 000000004178: 7E5A412D
	v_exp_f32_e32 v46, v46                                     // 00000000417C: 7E5C412E
	v_exp_f32_e32 v47, v47                                     // 000000004180: 7E5E412F
	buffer_load_dwordx4 a[36:39], v37, s[12:15], 0 offen       // 000000004184: E05C1000 80832425
	v_add_f32_e64 v44, v44, 1.0                                // 00000000418C: D101002C 0001E52C
	v_add_f32_e64 v45, v45, 1.0                                // 000000004194: D101002D 0001E52D
	v_add_f32_e64 v46, v46, 1.0                                // 00000000419C: D101002E 0001E52E
	v_add_f32_e64 v47, v47, 1.0                                // 0000000041A4: D101002F 0001E52F
	v_rcp_f32_e32 v44, v44                                     // 0000000041AC: 7E58452C
	v_rcp_f32_e32 v45, v45                                     // 0000000041B0: 7E5A452D
	v_rcp_f32_e32 v46, v46                                     // 0000000041B4: 7E5C452E
	v_rcp_f32_e32 v47, v47                                     // 0000000041B8: 7E5E452F
	v_mul_f32_e32 v144, v144, v44                              // 0000000041BC: 0B205990
	v_mul_f32_e32 v145, v145, v45                              // 0000000041C0: 0B225B91
	v_mul_f32_e32 v146, v146, v46                              // 0000000041C4: 0B245D92
	v_mul_f32_e32 v147, v147, v47                              // 0000000041C8: 0B265F93
	buffer_load_dwordx4 a[40:43], v38, s[12:15], 0 offen       // 0000000041CC: E05C1000 80832826
	v_mul_f32_e32 v44, v148, v148                              // 0000000041D4: 0A592994
	v_mul_f32_e32 v45, v149, v149                              // 0000000041D8: 0A5B2B95
	v_mul_f32_e32 v46, v150, v150                              // 0000000041DC: 0A5D2D96
	v_mul_f32_e32 v47, v151, v151                              // 0000000041E0: 0A5F2F97
	v_fma_f32 v44, v44, s77, v1                                // 0000000041E4: D1CB002C 04049B2C
	v_fma_f32 v45, v45, s77, v1                                // 0000000041EC: D1CB002D 04049B2D
	v_fma_f32 v46, v46, s77, v1                                // 0000000041F4: D1CB002E 04049B2E
	v_fma_f32 v47, v47, s77, v1                                // 0000000041FC: D1CB002F 04049B2F
	v_mul_f32_e32 v44, v44, v148                               // 000000004204: 0A59292C
	v_mul_f32_e32 v45, v45, v149                               // 000000004208: 0A5B2B2D
	v_mul_f32_e32 v46, v46, v150                               // 00000000420C: 0A5D2D2E
	v_mul_f32_e32 v47, v47, v151                               // 000000004210: 0A5F2F2F
	v_mul_f32_e64 v44, v44, s6                                 // 000000004214: D105002C 00000D2C
	v_mul_f32_e64 v45, v45, s6                                 // 00000000421C: D105002D 00000D2D
	v_mul_f32_e64 v46, v46, s6                                 // 000000004224: D105002E 00000D2E
	v_mul_f32_e64 v47, v47, s6                                 // 00000000422C: D105002F 00000D2F
	v_exp_f32_e32 v44, v44                                     // 000000004234: 7E58412C
	v_exp_f32_e32 v45, v45                                     // 000000004238: 7E5A412D
	v_exp_f32_e32 v46, v46                                     // 00000000423C: 7E5C412E
	v_exp_f32_e32 v47, v47                                     // 000000004240: 7E5E412F
	buffer_load_dwordx4 a[44:47], v39, s[12:15], 0 offen       // 000000004244: E05C1000 80832C27
	s_add_u32 s12, s78, s12                                    // 00000000424C: 800C0C4E
	s_addc_u32 s13, 0, s13                                     // 000000004250: 820D0D80
	v_add_f32_e64 v44, v44, 1.0                                // 000000004254: D101002C 0001E52C
	v_add_f32_e64 v45, v45, 1.0                                // 00000000425C: D101002D 0001E52D
	v_add_f32_e64 v46, v46, 1.0                                // 000000004264: D101002E 0001E52E
	v_add_f32_e64 v47, v47, 1.0                                // 00000000426C: D101002F 0001E52F
	v_rcp_f32_e32 v44, v44                                     // 000000004274: 7E58452C
	v_rcp_f32_e32 v45, v45                                     // 000000004278: 7E5A452D
	v_rcp_f32_e32 v46, v46                                     // 00000000427C: 7E5C452E
	v_rcp_f32_e32 v47, v47                                     // 000000004280: 7E5E452F
	v_mul_f32_e32 v148, v148, v44                              // 000000004284: 0B285994
	v_mul_f32_e32 v149, v149, v45                              // 000000004288: 0B2A5B95
	v_mul_f32_e32 v150, v150, v46                              // 00000000428C: 0B2C5D96
	v_mul_f32_e32 v151, v151, v47                              // 000000004290: 0B2E5F97
	s_waitcnt vmcnt(12)                                        // 000000004294: BF8C0F7C
	buffer_load_dwordx4 a[48:51], v36, s[12:15], 0 offen       // 000000004298: E05C1000 80833024
	v_mul_f32_e32 v44, v152, v152                              // 0000000042A0: 0A593198
	v_mul_f32_e32 v45, v153, v153                              // 0000000042A4: 0A5B3399
	v_mul_f32_e32 v46, v154, v154                              // 0000000042A8: 0A5D359A
	v_mul_f32_e32 v47, v155, v155                              // 0000000042AC: 0A5F379B
	v_fma_f32 v44, v44, s77, v1                                // 0000000042B0: D1CB002C 04049B2C
	v_fma_f32 v45, v45, s77, v1                                // 0000000042B8: D1CB002D 04049B2D
	v_fma_f32 v46, v46, s77, v1                                // 0000000042C0: D1CB002E 04049B2E
	v_fma_f32 v47, v47, s77, v1                                // 0000000042C8: D1CB002F 04049B2F
	v_mul_f32_e32 v44, v44, v152                               // 0000000042D0: 0A59312C
	v_mul_f32_e32 v45, v45, v153                               // 0000000042D4: 0A5B332D
	v_mul_f32_e32 v46, v46, v154                               // 0000000042D8: 0A5D352E
	v_mul_f32_e32 v47, v47, v155                               // 0000000042DC: 0A5F372F
	v_mul_f32_e64 v44, v44, s6                                 // 0000000042E0: D105002C 00000D2C
	v_mul_f32_e64 v45, v45, s6                                 // 0000000042E8: D105002D 00000D2D
	v_mul_f32_e64 v46, v46, s6                                 // 0000000042F0: D105002E 00000D2E
	v_mul_f32_e64 v47, v47, s6                                 // 0000000042F8: D105002F 00000D2F
	v_exp_f32_e32 v44, v44                                     // 000000004300: 7E58412C
	v_exp_f32_e32 v45, v45                                     // 000000004304: 7E5A412D
	v_exp_f32_e32 v46, v46                                     // 000000004308: 7E5C412E
	v_exp_f32_e32 v47, v47                                     // 00000000430C: 7E5E412F
	buffer_load_dwordx4 a[52:55], v37, s[12:15], 0 offen       // 000000004310: E05C1000 80833425
	v_add_f32_e64 v44, v44, 1.0                                // 000000004318: D101002C 0001E52C
	v_add_f32_e64 v45, v45, 1.0                                // 000000004320: D101002D 0001E52D
	v_add_f32_e64 v46, v46, 1.0                                // 000000004328: D101002E 0001E52E
	v_add_f32_e64 v47, v47, 1.0                                // 000000004330: D101002F 0001E52F
	v_rcp_f32_e32 v44, v44                                     // 000000004338: 7E58452C
	v_rcp_f32_e32 v45, v45                                     // 00000000433C: 7E5A452D
	v_rcp_f32_e32 v46, v46                                     // 000000004340: 7E5C452E
	v_rcp_f32_e32 v47, v47                                     // 000000004344: 7E5E452F
	v_mul_f32_e32 v152, v152, v44                              // 000000004348: 0B305998
	v_mul_f32_e32 v153, v153, v45                              // 00000000434C: 0B325B99
	v_mul_f32_e32 v154, v154, v46                              // 000000004350: 0B345D9A
	v_mul_f32_e32 v155, v155, v47                              // 000000004354: 0B365F9B
	buffer_load_dwordx4 a[56:59], v38, s[12:15], 0 offen       // 000000004358: E05C1000 80833826
	v_mul_f32_e32 v44, v156, v156                              // 000000004360: 0A59399C
	v_mul_f32_e32 v45, v157, v157                              // 000000004364: 0A5B3B9D
	v_mul_f32_e32 v46, v158, v158                              // 000000004368: 0A5D3D9E
	v_mul_f32_e32 v47, v159, v159                              // 00000000436C: 0A5F3F9F
	v_fma_f32 v44, v44, s77, v1                                // 000000004370: D1CB002C 04049B2C
	v_fma_f32 v45, v45, s77, v1                                // 000000004378: D1CB002D 04049B2D
	v_fma_f32 v46, v46, s77, v1                                // 000000004380: D1CB002E 04049B2E
	v_fma_f32 v47, v47, s77, v1                                // 000000004388: D1CB002F 04049B2F
	v_mul_f32_e32 v44, v44, v156                               // 000000004390: 0A59392C
	v_mul_f32_e32 v45, v45, v157                               // 000000004394: 0A5B3B2D
	v_mul_f32_e32 v46, v46, v158                               // 000000004398: 0A5D3D2E
	v_mul_f32_e32 v47, v47, v159                               // 00000000439C: 0A5F3F2F
	v_mul_f32_e64 v44, v44, s6                                 // 0000000043A0: D105002C 00000D2C
	v_mul_f32_e64 v45, v45, s6                                 // 0000000043A8: D105002D 00000D2D
	v_mul_f32_e64 v46, v46, s6                                 // 0000000043B0: D105002E 00000D2E
	v_mul_f32_e64 v47, v47, s6                                 // 0000000043B8: D105002F 00000D2F
	v_exp_f32_e32 v44, v44                                     // 0000000043C0: 7E58412C
	v_exp_f32_e32 v45, v45                                     // 0000000043C4: 7E5A412D
	v_exp_f32_e32 v46, v46                                     // 0000000043C8: 7E5C412E
	v_exp_f32_e32 v47, v47                                     // 0000000043CC: 7E5E412F
	buffer_load_dwordx4 a[60:63], v39, s[12:15], 0 offen       // 0000000043D0: E05C1000 80833C27
	v_add_f32_e64 v44, v44, 1.0                                // 0000000043D8: D101002C 0001E52C
	v_add_f32_e64 v45, v45, 1.0                                // 0000000043E0: D101002D 0001E52D
	v_add_f32_e64 v46, v46, 1.0                                // 0000000043E8: D101002E 0001E52E
	v_add_f32_e64 v47, v47, 1.0                                // 0000000043F0: D101002F 0001E52F
	v_rcp_f32_e32 v44, v44                                     // 0000000043F8: 7E58452C
	v_rcp_f32_e32 v45, v45                                     // 0000000043FC: 7E5A452D
	v_rcp_f32_e32 v46, v46                                     // 000000004400: 7E5C452E
	v_rcp_f32_e32 v47, v47                                     // 000000004404: 7E5E452F
	v_mul_f32_e32 v156, v156, v44                              // 000000004408: 0B38599C
	v_mul_f32_e32 v157, v157, v45                              // 00000000440C: 0B3A5B9D
	v_mul_f32_e32 v158, v158, v46                              // 000000004410: 0B3C5D9E
	v_mul_f32_e32 v159, v159, v47                              // 000000004414: 0B3E5F9F
	v_mul_f32_dpp v128, v16, v128 row_newbcast:0 row_mask:0xf bank_mask:0xf// 000000004418: 0B0100FA FF015010
	v_mul_f32_dpp v129, v16, v129 row_newbcast:1 row_mask:0xf bank_mask:0xf// 000000004420: 0B0302FA FF015110
	v_mul_f32_dpp v130, v16, v130 row_newbcast:2 row_mask:0xf bank_mask:0xf// 000000004428: 0B0504FA FF015210
	v_mul_f32_dpp v131, v16, v131 row_newbcast:3 row_mask:0xf bank_mask:0xf// 000000004430: 0B0706FA FF015310
	v_mul_f32_dpp v132, v16, v132 row_newbcast:0 row_mask:0xf bank_mask:0xf// 000000004438: 0B0908FA FF015010
	v_mul_f32_dpp v133, v16, v133 row_newbcast:1 row_mask:0xf bank_mask:0xf// 000000004440: 0B0B0AFA FF015110
	v_mul_f32_dpp v134, v16, v134 row_newbcast:2 row_mask:0xf bank_mask:0xf// 000000004448: 0B0D0CFA FF015210
	v_mul_f32_dpp v135, v16, v135 row_newbcast:3 row_mask:0xf bank_mask:0xf// 000000004450: 0B0F0EFA FF015310
	v_mul_f32_dpp v136, v16, v136 row_newbcast:4 row_mask:0xf bank_mask:0xf// 000000004458: 0B1110FA FF015410
	v_mul_f32_dpp v137, v16, v137 row_newbcast:5 row_mask:0xf bank_mask:0xf// 000000004460: 0B1312FA FF015510
	v_mul_f32_dpp v138, v16, v138 row_newbcast:6 row_mask:0xf bank_mask:0xf// 000000004468: 0B1514FA FF015610
	v_mul_f32_dpp v139, v16, v139 row_newbcast:7 row_mask:0xf bank_mask:0xf// 000000004470: 0B1716FA FF015710
	v_mul_f32_dpp v140, v16, v140 row_newbcast:4 row_mask:0xf bank_mask:0xf// 000000004478: 0B1918FA FF015410
	v_mul_f32_dpp v141, v16, v141 row_newbcast:5 row_mask:0xf bank_mask:0xf// 000000004480: 0B1B1AFA FF015510
	v_mul_f32_dpp v142, v16, v142 row_newbcast:6 row_mask:0xf bank_mask:0xf// 000000004488: 0B1D1CFA FF015610
	v_mul_f32_dpp v143, v16, v143 row_newbcast:7 row_mask:0xf bank_mask:0xf// 000000004490: 0B1F1EFA FF015710
	v_mul_f32_dpp v144, v16, v144 row_newbcast:8 row_mask:0xf bank_mask:0xf// 000000004498: 0B2120FA FF015810
	v_mul_f32_dpp v145, v16, v145 row_newbcast:9 row_mask:0xf bank_mask:0xf// 0000000044A0: 0B2322FA FF015910
	v_mul_f32_dpp v146, v16, v146 row_newbcast:10 row_mask:0xf bank_mask:0xf// 0000000044A8: 0B2524FA FF015A10
	v_mul_f32_dpp v147, v16, v147 row_newbcast:11 row_mask:0xf bank_mask:0xf// 0000000044B0: 0B2726FA FF015B10
	v_mul_f32_dpp v148, v16, v148 row_newbcast:8 row_mask:0xf bank_mask:0xf// 0000000044B8: 0B2928FA FF015810
	v_mul_f32_dpp v149, v16, v149 row_newbcast:9 row_mask:0xf bank_mask:0xf// 0000000044C0: 0B2B2AFA FF015910
	v_mul_f32_dpp v150, v16, v150 row_newbcast:10 row_mask:0xf bank_mask:0xf// 0000000044C8: 0B2D2CFA FF015A10
	v_mul_f32_dpp v151, v16, v151 row_newbcast:11 row_mask:0xf bank_mask:0xf// 0000000044D0: 0B2F2EFA FF015B10
	v_mul_f32_dpp v152, v16, v152 row_newbcast:12 row_mask:0xf bank_mask:0xf// 0000000044D8: 0B3130FA FF015C10
	v_mul_f32_dpp v153, v16, v153 row_newbcast:13 row_mask:0xf bank_mask:0xf// 0000000044E0: 0B3332FA FF015D10
	v_mul_f32_dpp v154, v16, v154 row_newbcast:14 row_mask:0xf bank_mask:0xf// 0000000044E8: 0B3534FA FF015E10
	v_mul_f32_dpp v155, v16, v155 row_newbcast:15 row_mask:0xf bank_mask:0xf// 0000000044F0: 0B3736FA FF015F10
	v_mul_f32_dpp v156, v16, v156 row_newbcast:12 row_mask:0xf bank_mask:0xf// 0000000044F8: 0B3938FA FF015C10
	v_mul_f32_dpp v157, v16, v157 row_newbcast:13 row_mask:0xf bank_mask:0xf// 000000004500: 0B3B3AFA FF015D10
	v_mul_f32_dpp v158, v16, v158 row_newbcast:14 row_mask:0xf bank_mask:0xf// 000000004508: 0B3D3CFA FF015E10
	v_mul_f32_dpp v159, v16, v159 row_newbcast:15 row_mask:0xf bank_mask:0xf// 000000004510: 0B3F3EFA FF015F10
	buffer_load_dword v11, v5, s[16:19], 0 offen               // 000000004518: E0501000 80040B05
	v_mov_b32_e32 v20, 0x358637bd                              // 000000004520: 7E2802FF 358637BD
	v_mov_b32_e32 v21, 0x358637bd                              // 000000004528: 7E2A02FF 358637BD
	v_max3_f32 v20, |v128|, |v129|, v20                        // 000000004530: D1D30314 04530380
	v_max3_f32 v20, |v130|, |v131|, v20                        // 000000004538: D1D30314 04530782
	v_max3_f32 v21, |v132|, |v133|, v21                        // 000000004540: D1D30315 04570B84
	v_max3_f32 v21, |v134|, |v135|, v21                        // 000000004548: D1D30315 04570F86
	v_max3_f32 v20, |v136|, |v137|, v20                        // 000000004550: D1D30314 04531388
	v_max3_f32 v20, |v138|, |v139|, v20                        // 000000004558: D1D30314 0453178A
	v_max3_f32 v21, |v140|, |v141|, v21                        // 000000004560: D1D30315 04571B8C
	v_max3_f32 v21, |v142|, |v143|, v21                        // 000000004568: D1D30315 04571F8E
	v_max3_f32 v20, |v144|, |v145|, v20                        // 000000004570: D1D30314 04532390
	v_max3_f32 v20, |v146|, |v147|, v20                        // 000000004578: D1D30314 04532792
	v_max3_f32 v21, |v148|, |v149|, v21                        // 000000004580: D1D30315 04572B94
	v_max3_f32 v21, |v150|, |v151|, v21                        // 000000004588: D1D30315 04572F96
	v_max3_f32 v20, |v152|, |v153|, v20                        // 000000004590: D1D30314 04533398
	v_max3_f32 v20, |v154|, |v155|, v20                        // 000000004598: D1D30314 0453379A
	v_max3_f32 v21, |v156|, |v157|, v21                        // 0000000045A0: D1D30315 04573B9C
	v_max3_f32 v21, |v158|, |v159|, v21                        // 0000000045A8: D1D30315 04573F9E
	v_lshlrev_b32_e32 v44, 3, v0                               // 0000000045B0: 24580083
	s_mul_i32 s60, 0x200, s7                                   // 0000000045B4: 923C07FF 00000200
	v_add_u32_e32 v44, s60, v44                                // 0000000045BC: 6858583C
	ds_write_b64 v44, v[20:21] offset:16640                    // 0000000045C0: D89A4100 0000142C
	s_waitcnt lgkmcnt(0)                                       // 0000000045C8: BF8CC07F
	s_barrier                                                  // 0000000045CC: BF8A0000
	v_and_b32_e32 v44, 15, v0                                  // 0000000045D0: 2658008F
	v_lshlrev_b32_e32 v44, 3, v44                              // 0000000045D4: 24585883
	ds_read_b64 v[96:97], v44 offset:16640                     // 0000000045D8: D8EC4100 6000002C
	ds_read_b64 v[98:99], v44 offset:16768                     // 0000000045E0: D8EC4180 6200002C
	ds_read_b64 v[100:101], v44 offset:16896                   // 0000000045E8: D8EC4200 6400002C
	ds_read_b64 v[102:103], v44 offset:17024                   // 0000000045F0: D8EC4280 6600002C
	ds_read_b64 v[104:105], v44 offset:17152                   // 0000000045F8: D8EC4300 6800002C
	ds_read_b64 v[106:107], v44 offset:17280                   // 000000004600: D8EC4380 6A00002C
	ds_read_b64 v[108:109], v44 offset:17408                   // 000000004608: D8EC4400 6C00002C
	ds_read_b64 v[110:111], v44 offset:17536                   // 000000004610: D8EC4480 6E00002C
	ds_read_b64 v[112:113], v44 offset:17664                   // 000000004618: D8EC4500 7000002C
	ds_read_b64 v[114:115], v44 offset:17792                   // 000000004620: D8EC4580 7200002C
	ds_read_b64 v[116:117], v44 offset:17920                   // 000000004628: D8EC4600 7400002C
	ds_read_b64 v[118:119], v44 offset:18048                   // 000000004630: D8EC4680 7600002C
	ds_read_b64 v[120:121], v44 offset:18176                   // 000000004638: D8EC4700 7800002C
	ds_read_b64 v[122:123], v44 offset:18304                   // 000000004640: D8EC4780 7A00002C
	ds_read_b64 v[124:125], v44 offset:18432                   // 000000004648: D8EC4800 7C00002C
	ds_read_b64 v[126:127], v44 offset:18560                   // 000000004650: D8EC4880 7E00002C
	s_waitcnt lgkmcnt(0)                                       // 000000004658: BF8CC07F
	v_max3_f32 v20, |v96|, |v98|, v20                          // 00000000465C: D1D30314 0452C560
	v_max3_f32 v21, |v97|, |v99|, v21                          // 000000004664: D1D30315 0456C761
	v_max3_f32 v20, |v100|, |v102|, v20                        // 00000000466C: D1D30314 0452CD64
	v_max3_f32 v21, |v101|, |v103|, v21                        // 000000004674: D1D30315 0456CF65
	v_max3_f32 v20, |v104|, |v106|, v20                        // 00000000467C: D1D30314 0452D568
	v_max3_f32 v21, |v105|, |v107|, v21                        // 000000004684: D1D30315 0456D769
	v_max3_f32 v20, |v108|, |v110|, v20                        // 00000000468C: D1D30314 0452DD6C
	v_max3_f32 v21, |v109|, |v111|, v21                        // 000000004694: D1D30315 0456DF6D
	v_max3_f32 v20, |v112|, |v114|, v20                        // 00000000469C: D1D30314 0452E570
	v_max3_f32 v21, |v113|, |v115|, v21                        // 0000000046A4: D1D30315 0456E771
	v_max3_f32 v20, |v116|, |v118|, v20                        // 0000000046AC: D1D30314 0452ED74
	v_max3_f32 v21, |v117|, |v119|, v21                        // 0000000046B4: D1D30315 0456EF75
	v_max3_f32 v20, |v120|, |v122|, v20                        // 0000000046BC: D1D30314 0452F578
	v_max3_f32 v21, |v121|, |v123|, v21                        // 0000000046C4: D1D30315 0456F779
	v_max3_f32 v20, |v124|, |v126|, v20                        // 0000000046CC: D1D30314 0452FD7C
	v_max3_f32 v21, |v125|, |v127|, v21                        // 0000000046D4: D1D30315 0456FF7D
	v_rcp_f32_e32 v20, v20                                     // 0000000046DC: 7E284514
	v_rcp_f32_e32 v21, v21                                     // 0000000046E0: 7E2A4515
	v_mul_f32_e32 v20, 0x42fe0000, v20                         // 0000000046E4: 0A2828FF 42FE0000
	v_mul_f32_e32 v21, 0x42fe0000, v21                         // 0000000046EC: 0A2A2AFF 42FE0000
	v_mul_f32_e32 v128, v20, v128                              // 0000000046F4: 0B010114
	v_mul_f32_e32 v129, v20, v129                              // 0000000046F8: 0B030314
	v_mul_f32_e32 v130, v20, v130                              // 0000000046FC: 0B050514
	v_mul_f32_e32 v131, v20, v131                              // 000000004700: 0B070714
	v_cvt_i32_f32_e32 v128, v128                               // 000000004704: 7F001180
	v_cvt_i32_f32_e32 v129, v129                               // 000000004708: 7F021181
	v_cvt_i32_f32_e32 v130, v130                               // 00000000470C: 7F041182
	v_cvt_i32_f32_e32 v131, v131                               // 000000004710: 7F061183
	v_perm_b32 v128, v129, v128, s53                           // 000000004714: D1ED0080 00D70181
	v_perm_b32 v128, v130, v128, s54                           // 00000000471C: D1ED0080 00DB0182
	v_perm_b32 v128, v131, v128, s55                           // 000000004724: D1ED0080 00DF0183
	v_mul_f32_e32 v132, v21, v132                              // 00000000472C: 0B090915
	v_mul_f32_e32 v133, v21, v133                              // 000000004730: 0B0B0B15
	v_mul_f32_e32 v134, v21, v134                              // 000000004734: 0B0D0D15
	v_mul_f32_e32 v135, v21, v135                              // 000000004738: 0B0F0F15
	v_cvt_i32_f32_e32 v132, v132                               // 00000000473C: 7F081184
	v_cvt_i32_f32_e32 v133, v133                               // 000000004740: 7F0A1185
	v_cvt_i32_f32_e32 v134, v134                               // 000000004744: 7F0C1186
	v_cvt_i32_f32_e32 v135, v135                               // 000000004748: 7F0E1187
	v_perm_b32 v129, v133, v132, s53                           // 00000000474C: D1ED0081 00D70985
	v_perm_b32 v129, v134, v129, s54                           // 000000004754: D1ED0081 00DB0386
	v_perm_b32 v129, v135, v129, s55                           // 00000000475C: D1ED0081 00DF0387
	v_mul_f32_e32 v136, v20, v136                              // 000000004764: 0B111114
	v_mul_f32_e32 v137, v20, v137                              // 000000004768: 0B131314
	v_mul_f32_e32 v138, v20, v138                              // 00000000476C: 0B151514
	v_mul_f32_e32 v139, v20, v139                              // 000000004770: 0B171714
	v_cvt_i32_f32_e32 v136, v136                               // 000000004774: 7F101188
	v_cvt_i32_f32_e32 v137, v137                               // 000000004778: 7F121189
	v_cvt_i32_f32_e32 v138, v138                               // 00000000477C: 7F14118A
	v_cvt_i32_f32_e32 v139, v139                               // 000000004780: 7F16118B
	v_perm_b32 v130, v137, v136, s53                           // 000000004784: D1ED0082 00D71189
	v_perm_b32 v130, v138, v130, s54                           // 00000000478C: D1ED0082 00DB058A
	v_perm_b32 v130, v139, v130, s55                           // 000000004794: D1ED0082 00DF058B
	v_mul_f32_e32 v140, v21, v140                              // 00000000479C: 0B191915
	v_mul_f32_e32 v141, v21, v141                              // 0000000047A0: 0B1B1B15
	v_mul_f32_e32 v142, v21, v142                              // 0000000047A4: 0B1D1D15
	v_mul_f32_e32 v143, v21, v143                              // 0000000047A8: 0B1F1F15
	v_cvt_i32_f32_e32 v140, v140                               // 0000000047AC: 7F18118C
	v_cvt_i32_f32_e32 v141, v141                               // 0000000047B0: 7F1A118D
	v_cvt_i32_f32_e32 v142, v142                               // 0000000047B4: 7F1C118E
	v_cvt_i32_f32_e32 v143, v143                               // 0000000047B8: 7F1E118F
	v_perm_b32 v131, v141, v140, s53                           // 0000000047BC: D1ED0083 00D7198D
	v_perm_b32 v131, v142, v131, s54                           // 0000000047C4: D1ED0083 00DB078E
	v_perm_b32 v131, v143, v131, s55                           // 0000000047CC: D1ED0083 00DF078F
	v_mul_f32_e32 v144, v20, v144                              // 0000000047D4: 0B212114
	v_mul_f32_e32 v145, v20, v145                              // 0000000047D8: 0B232314
	v_mul_f32_e32 v146, v20, v146                              // 0000000047DC: 0B252514
	v_mul_f32_e32 v147, v20, v147                              // 0000000047E0: 0B272714
	v_cvt_i32_f32_e32 v144, v144                               // 0000000047E4: 7F201190
	v_cvt_i32_f32_e32 v145, v145                               // 0000000047E8: 7F221191
	v_cvt_i32_f32_e32 v146, v146                               // 0000000047EC: 7F241192
	v_cvt_i32_f32_e32 v147, v147                               // 0000000047F0: 7F261193
	v_perm_b32 v132, v145, v144, s53                           // 0000000047F4: D1ED0084 00D72191
	v_perm_b32 v132, v146, v132, s54                           // 0000000047FC: D1ED0084 00DB0992
	v_perm_b32 v132, v147, v132, s55                           // 000000004804: D1ED0084 00DF0993
	v_mul_f32_e32 v148, v21, v148                              // 00000000480C: 0B292915
	v_mul_f32_e32 v149, v21, v149                              // 000000004810: 0B2B2B15
	v_mul_f32_e32 v150, v21, v150                              // 000000004814: 0B2D2D15
	v_mul_f32_e32 v151, v21, v151                              // 000000004818: 0B2F2F15
	v_cvt_i32_f32_e32 v148, v148                               // 00000000481C: 7F281194
	v_cvt_i32_f32_e32 v149, v149                               // 000000004820: 7F2A1195
	v_cvt_i32_f32_e32 v150, v150                               // 000000004824: 7F2C1196
	v_cvt_i32_f32_e32 v151, v151                               // 000000004828: 7F2E1197
	v_perm_b32 v133, v149, v148, s53                           // 00000000482C: D1ED0085 00D72995
	v_perm_b32 v133, v150, v133, s54                           // 000000004834: D1ED0085 00DB0B96
	v_perm_b32 v133, v151, v133, s55                           // 00000000483C: D1ED0085 00DF0B97
	v_mul_f32_e32 v152, v20, v152                              // 000000004844: 0B313114
	v_mul_f32_e32 v153, v20, v153                              // 000000004848: 0B333314
	v_mul_f32_e32 v154, v20, v154                              // 00000000484C: 0B353514
	v_mul_f32_e32 v155, v20, v155                              // 000000004850: 0B373714
	v_cvt_i32_f32_e32 v152, v152                               // 000000004854: 7F301198
	v_cvt_i32_f32_e32 v153, v153                               // 000000004858: 7F321199
	v_cvt_i32_f32_e32 v154, v154                               // 00000000485C: 7F34119A
	v_cvt_i32_f32_e32 v155, v155                               // 000000004860: 7F36119B
	v_perm_b32 v134, v153, v152, s53                           // 000000004864: D1ED0086 00D73199
	v_perm_b32 v134, v154, v134, s54                           // 00000000486C: D1ED0086 00DB0D9A
	v_perm_b32 v134, v155, v134, s55                           // 000000004874: D1ED0086 00DF0D9B
	v_mul_f32_e32 v156, v21, v156                              // 00000000487C: 0B393915
	v_mul_f32_e32 v157, v21, v157                              // 000000004880: 0B3B3B15
	v_mul_f32_e32 v158, v21, v158                              // 000000004884: 0B3D3D15
	v_mul_f32_e32 v159, v21, v159                              // 000000004888: 0B3F3F15
	v_cvt_i32_f32_e32 v156, v156                               // 00000000488C: 7F38119C
	v_cvt_i32_f32_e32 v157, v157                               // 000000004890: 7F3A119D
	v_cvt_i32_f32_e32 v158, v158                               // 000000004894: 7F3C119E
	v_cvt_i32_f32_e32 v159, v159                               // 000000004898: 7F3E119F
	v_perm_b32 v135, v157, v156, s53                           // 00000000489C: D1ED0087 00D7399D
	v_perm_b32 v135, v158, v135, s54                           // 0000000048A4: D1ED0087 00DB0F9E
	v_perm_b32 v135, v159, v135, s55                           // 0000000048AC: D1ED0087 00DF0F9F
	v_rcp_f32_e32 v22, v20                                     // 0000000048B4: 7E2C4514
	v_rcp_f32_e32 v23, v21                                     // 0000000048B8: 7E2E4515
	v_lshrrev_b32_e32 v44, 5, v0                               // 0000000048BC: 20580085
	v_lshlrev_b32_e32 v45, 5, v44                              // 0000000048C0: 245A5885
	v_and_b32_e32 v44, 31, v0                                  // 0000000048C4: 2658009F
	v_lshrrev_b32_e32 v46, 4, v44                              // 0000000048C8: 205C5884
	v_add_u32_e32 v45, v46, v45                                // 0000000048CC: 685A5B2E
	v_and_b32_e32 v44, 15, v0                                  // 0000000048D0: 2658008F
	v_lshlrev_b32_e32 v44, 1, v44                              // 0000000048D4: 24585881
	v_add_u32_e32 v45, v44, v45                                // 0000000048D8: 685A5B2C
	v_lshlrev_b32_e32 v44, 2, v45                              // 0000000048DC: 24585A82
	s_mul_i32 s60, 0x100, s7                                   // 0000000048E0: 923C07FF 00000100
	v_add_u32_e64 v44, v44, s60                                // 0000000048E8: D134002C 0000792C
	ds_write_b32 v44, v128 offset:18688                        // 0000000048F0: D81A4900 0000802C
	ds_write_b32 v44, v129 offset:22784                        // 0000000048F8: D81A5900 0000812C
	ds_write_b32 v44, v130 offset:19712                        // 000000004900: D81A4D00 0000822C
	ds_write_b32 v44, v131 offset:23808                        // 000000004908: D81A5D00 0000832C
	ds_write_b32 v44, v132 offset:20736                        // 000000004910: D81A5100 0000842C
	ds_write_b32 v44, v133 offset:24832                        // 000000004918: D81A6100 0000852C
	ds_write_b32 v44, v134 offset:21760                        // 000000004920: D81A5500 0000862C
	ds_write_b32 v44, v135 offset:25856                        // 000000004928: D81A6500 0000872C
	s_waitcnt lgkmcnt(0)                                       // 000000004930: BF8CC07F
	s_barrier                                                  // 000000004934: BF8A0000
	v_lshrrev_b32_e32 v44, 4, v0                               // 000000004938: 20580084
	v_lshlrev_b32_e32 v45, 6, v44                              // 00000000493C: 245A5886
	v_and_b32_e32 v44, 15, v0                                  // 000000004940: 2658008F
	v_lshlrev_b32_e32 v44, 1, v44                              // 000000004944: 24585881
	v_add_u32_e32 v45, v44, v45                                // 000000004948: 685A5B2C
	v_lshlrev_b32_e32 v44, 2, v45                              // 00000000494C: 24585A82
	ds_read_b64 v[128:129], v44 offset:18688                   // 000000004950: D8EC4900 8000002C
	ds_read_b64 v[130:131], v44 offset:18816                   // 000000004958: D8EC4980 8200002C
	ds_read_b64 v[132:133], v44 offset:19712                   // 000000004960: D8EC4D00 8400002C
	ds_read_b64 v[134:135], v44 offset:19840                   // 000000004968: D8EC4D80 8600002C
	ds_read_b64 v[136:137], v44 offset:20736                   // 000000004970: D8EC5100 8800002C
	ds_read_b64 v[138:139], v44 offset:20864                   // 000000004978: D8EC5180 8A00002C
	ds_read_b64 v[140:141], v44 offset:21760                   // 000000004980: D8EC5500 8C00002C
	ds_read_b64 v[142:143], v44 offset:21888                   // 000000004988: D8EC5580 8E00002C
	ds_read_b64 v[144:145], v44 offset:22784                   // 000000004990: D8EC5900 9000002C
	ds_read_b64 v[146:147], v44 offset:22912                   // 000000004998: D8EC5980 9200002C
	ds_read_b64 v[148:149], v44 offset:23808                   // 0000000049A0: D8EC5D00 9400002C
	ds_read_b64 v[150:151], v44 offset:23936                   // 0000000049A8: D8EC5D80 9600002C
	ds_read_b64 v[152:153], v44 offset:24832                   // 0000000049B0: D8EC6100 9800002C
	ds_read_b64 v[154:155], v44 offset:24960                   // 0000000049B8: D8EC6180 9A00002C
	ds_read_b64 v[156:157], v44 offset:25856                   // 0000000049C0: D8EC6500 9C00002C
	ds_read_b64 v[158:159], v44 offset:25984                   // 0000000049C8: D8EC6580 9E00002C
	s_add_u32 s12, s56, s12                                    // 0000000049D0: 800C0C38
	s_addc_u32 s13, 0, s13                                     // 0000000049D4: 820D0D80
	s_add_u32 s16, s79, s16                                    // 0000000049D8: 8010104F
	s_addc_u32 s17, 0, s17                                     // 0000000049DC: 82111180
	s_mov_b32 s80, 0                                           // 0000000049E0: BED00080
	s_waitcnt vmcnt(0) expcnt(0) lgkmcnt(0)                    // 0000000049E4: BF8C0000

00000000000049e8 <label_07BA>:
	s_waitcnt vmcnt(29)                                        // 0000000049E8: BF8C4F7D
	s_barrier                                                  // 0000000049EC: BF8A0000
	v_mfma_i32_16x16x32_i8 v[160:163], a[0:1], v[128:129], 0   // 0000000049F0: D3D700A0 0A030100
	v_mfma_i32_16x16x32_i8 v[160:163], a[2:3], v[130:131], v[160:163]// 0000000049F8: D3D700A0 0E830502
	buffer_load_dwordx4 a[64:67], v36, s[12:15], 0 offen       // 000000004A00: E05C1000 80834024
	v_mfma_i32_16x16x32_i8 v[164:167], a[0:1], v[144:145], 0   // 000000004A08: D3D700A4 0A032100
	v_mfma_i32_16x16x32_i8 v[164:167], a[2:3], v[146:147], v[164:167]// 000000004A10: D3D700A4 0E932502
	v_mfma_i32_16x16x32_i8 v[168:171], a[4:5], v[128:129], 0   // 000000004A18: D3D700A8 0A030104
	v_mfma_i32_16x16x32_i8 v[168:171], a[6:7], v[130:131], v[168:171]// 000000004A20: D3D700A8 0EA30506
	buffer_load_dwordx4 a[68:71], v37, s[12:15], 0 offen       // 000000004A28: E05C1000 80834425
	v_mfma_i32_16x16x32_i8 v[172:175], a[4:5], v[144:145], 0   // 000000004A30: D3D700AC 0A032104
	v_mfma_i32_16x16x32_i8 v[172:175], a[6:7], v[146:147], v[172:175]// 000000004A38: D3D700AC 0EB32506
	v_mfma_i32_16x16x32_i8 v[176:179], a[8:9], v[128:129], 0   // 000000004A40: D3D700B0 0A030108
	v_mfma_i32_16x16x32_i8 v[176:179], a[10:11], v[130:131], v[176:179]// 000000004A48: D3D700B0 0EC3050A
	buffer_load_dwordx4 a[72:75], v38, s[12:15], 0 offen       // 000000004A50: E05C1000 80834826
	v_mfma_i32_16x16x32_i8 v[180:183], a[8:9], v[144:145], 0   // 000000004A58: D3D700B4 0A032108
	v_mfma_i32_16x16x32_i8 v[180:183], a[10:11], v[146:147], v[180:183]// 000000004A60: D3D700B4 0ED3250A
	v_mfma_i32_16x16x32_i8 v[184:187], a[12:13], v[128:129], 0 // 000000004A68: D3D700B8 0A03010C
	v_mfma_i32_16x16x32_i8 v[184:187], a[14:15], v[130:131], v[184:187]// 000000004A70: D3D700B8 0EE3050E
	buffer_load_dwordx4 a[76:79], v39, s[12:15], 0 offen       // 000000004A78: E05C1000 80834C27
	s_add_u32 s12, s78, s12                                    // 000000004A80: 800C0C4E
	s_addc_u32 s13, 0, s13                                     // 000000004A84: 820D0D80
	v_mfma_i32_16x16x32_i8 v[188:191], a[12:13], v[144:145], 0 // 000000004A88: D3D700BC 0A03210C
	v_mfma_i32_16x16x32_i8 v[188:191], a[14:15], v[146:147], v[188:191]// 000000004A90: D3D700BC 0EF3250E
	s_waitcnt vmcnt(29)                                        // 000000004A98: BF8C4F7D
	v_mfma_i32_16x16x32_i8 v[160:163], a[16:17], v[132:133], v[160:163]// 000000004A9C: D3D700A0 0E830910
	v_mfma_i32_16x16x32_i8 v[160:163], a[18:19], v[134:135], v[160:163]// 000000004AA4: D3D700A0 0E830D12
	buffer_load_dwordx4 a[80:83], v36, s[12:15], 0 offen       // 000000004AAC: E05C1000 80835024
	v_mfma_i32_16x16x32_i8 v[164:167], a[16:17], v[148:149], v[164:167]// 000000004AB4: D3D700A4 0E932910
	v_mfma_i32_16x16x32_i8 v[164:167], a[18:19], v[150:151], v[164:167]// 000000004ABC: D3D700A4 0E932D12
	v_mfma_i32_16x16x32_i8 v[168:171], a[20:21], v[132:133], v[168:171]// 000000004AC4: D3D700A8 0EA30914
	v_mfma_i32_16x16x32_i8 v[168:171], a[22:23], v[134:135], v[168:171]// 000000004ACC: D3D700A8 0EA30D16
	buffer_load_dwordx4 a[84:87], v37, s[12:15], 0 offen       // 000000004AD4: E05C1000 80835425
	v_mfma_i32_16x16x32_i8 v[172:175], a[20:21], v[148:149], v[172:175]// 000000004ADC: D3D700AC 0EB32914
	v_mfma_i32_16x16x32_i8 v[172:175], a[22:23], v[150:151], v[172:175]// 000000004AE4: D3D700AC 0EB32D16
	v_mfma_i32_16x16x32_i8 v[176:179], a[24:25], v[132:133], v[176:179]// 000000004AEC: D3D700B0 0EC30918
	v_mfma_i32_16x16x32_i8 v[176:179], a[26:27], v[134:135], v[176:179]// 000000004AF4: D3D700B0 0EC30D1A
	buffer_load_dwordx4 a[88:91], v38, s[12:15], 0 offen       // 000000004AFC: E05C1000 80835826
	v_mfma_i32_16x16x32_i8 v[180:183], a[24:25], v[148:149], v[180:183]// 000000004B04: D3D700B4 0ED32918
	v_mfma_i32_16x16x32_i8 v[180:183], a[26:27], v[150:151], v[180:183]// 000000004B0C: D3D700B4 0ED32D1A
	v_mfma_i32_16x16x32_i8 v[184:187], a[28:29], v[132:133], v[184:187]// 000000004B14: D3D700B8 0EE3091C
	v_mfma_i32_16x16x32_i8 v[184:187], a[30:31], v[134:135], v[184:187]// 000000004B1C: D3D700B8 0EE30D1E
	buffer_load_dwordx4 a[92:95], v39, s[12:15], 0 offen       // 000000004B24: E05C1000 80835C27
	s_add_u32 s12, s78, s12                                    // 000000004B2C: 800C0C4E
	s_addc_u32 s13, 0, s13                                     // 000000004B30: 820D0D80
	v_mfma_i32_16x16x32_i8 v[188:191], a[28:29], v[148:149], v[188:191]// 000000004B34: D3D700BC 0EF3291C
	v_mfma_i32_16x16x32_i8 v[188:191], a[30:31], v[150:151], v[188:191]// 000000004B3C: D3D700BC 0EF32D1E
	s_waitcnt vmcnt(29)                                        // 000000004B44: BF8C4F7D
	v_mfma_i32_16x16x32_i8 v[160:163], a[32:33], v[136:137], v[160:163]// 000000004B48: D3D700A0 0E831120
	v_mfma_i32_16x16x32_i8 v[160:163], a[34:35], v[138:139], v[160:163]// 000000004B50: D3D700A0 0E831522
	buffer_load_dwordx4 a[96:99], v36, s[12:15], 0 offen       // 000000004B58: E05C1000 80836024
	v_mfma_i32_16x16x32_i8 v[164:167], a[32:33], v[152:153], v[164:167]// 000000004B60: D3D700A4 0E933120
	v_mfma_i32_16x16x32_i8 v[164:167], a[34:35], v[154:155], v[164:167]// 000000004B68: D3D700A4 0E933522
	v_mfma_i32_16x16x32_i8 v[168:171], a[36:37], v[136:137], v[168:171]// 000000004B70: D3D700A8 0EA31124
	v_mfma_i32_16x16x32_i8 v[168:171], a[38:39], v[138:139], v[168:171]// 000000004B78: D3D700A8 0EA31526
	buffer_load_dwordx4 a[100:103], v37, s[12:15], 0 offen     // 000000004B80: E05C1000 80836425
	v_mfma_i32_16x16x32_i8 v[172:175], a[36:37], v[152:153], v[172:175]// 000000004B88: D3D700AC 0EB33124
	v_mfma_i32_16x16x32_i8 v[172:175], a[38:39], v[154:155], v[172:175]// 000000004B90: D3D700AC 0EB33526
	v_mfma_i32_16x16x32_i8 v[176:179], a[40:41], v[136:137], v[176:179]// 000000004B98: D3D700B0 0EC31128
	v_mfma_i32_16x16x32_i8 v[176:179], a[42:43], v[138:139], v[176:179]// 000000004BA0: D3D700B0 0EC3152A
	buffer_load_dwordx4 a[104:107], v38, s[12:15], 0 offen     // 000000004BA8: E05C1000 80836826
	v_mfma_i32_16x16x32_i8 v[180:183], a[40:41], v[152:153], v[180:183]// 000000004BB0: D3D700B4 0ED33128
	v_mfma_i32_16x16x32_i8 v[180:183], a[42:43], v[154:155], v[180:183]// 000000004BB8: D3D700B4 0ED3352A
	v_mfma_i32_16x16x32_i8 v[184:187], a[44:45], v[136:137], v[184:187]// 000000004BC0: D3D700B8 0EE3112C
	v_mfma_i32_16x16x32_i8 v[184:187], a[46:47], v[138:139], v[184:187]// 000000004BC8: D3D700B8 0EE3152E
	buffer_load_dwordx4 a[108:111], v39, s[12:15], 0 offen     // 000000004BD0: E05C1000 80836C27
	s_add_u32 s12, s78, s12                                    // 000000004BD8: 800C0C4E
	s_addc_u32 s13, 0, s13                                     // 000000004BDC: 820D0D80
	v_mfma_i32_16x16x32_i8 v[188:191], a[44:45], v[152:153], v[188:191]// 000000004BE0: D3D700BC 0EF3312C
	v_mfma_i32_16x16x32_i8 v[188:191], a[46:47], v[154:155], v[188:191]// 000000004BE8: D3D700BC 0EF3352E
	s_waitcnt vmcnt(28)                                        // 000000004BF0: BF8C4F7C
	v_mfma_i32_16x16x32_i8 v[160:163], a[48:49], v[140:141], v[160:163]// 000000004BF4: D3D700A0 0E831930
	v_mfma_i32_16x16x32_i8 v[160:163], a[50:51], v[142:143], v[160:163]// 000000004BFC: D3D700A0 0E831D32
	buffer_load_dwordx4 a[112:115], v36, s[12:15], 0 offen     // 000000004C04: E05C1000 80837024
	v_mfma_i32_16x16x32_i8 v[164:167], a[48:49], v[156:157], v[164:167]// 000000004C0C: D3D700A4 0E933930
	v_mfma_i32_16x16x32_i8 v[164:167], a[50:51], v[158:159], v[164:167]// 000000004C14: D3D700A4 0E933D32
	buffer_load_dword v12, v5, s[16:19], 0 offen               // 000000004C1C: E0501000 80040C05
	v_mfma_i32_16x16x32_i8 v[168:171], a[52:53], v[140:141], v[168:171]// 000000004C24: D3D700A8 0EA31934
	v_mfma_i32_16x16x32_i8 v[168:171], a[54:55], v[142:143], v[168:171]// 000000004C2C: D3D700A8 0EA31D36
	buffer_load_dwordx4 a[116:119], v37, s[12:15], 0 offen     // 000000004C34: E05C1000 80837425
	v_mfma_i32_16x16x32_i8 v[172:175], a[52:53], v[156:157], v[172:175]// 000000004C3C: D3D700AC 0EB33934
	v_mfma_i32_16x16x32_i8 v[172:175], a[54:55], v[158:159], v[172:175]// 000000004C44: D3D700AC 0EB33D36
	v_mfma_i32_16x16x32_i8 v[176:179], a[56:57], v[140:141], v[176:179]// 000000004C4C: D3D700B0 0EC31938
	v_mfma_i32_16x16x32_i8 v[176:179], a[58:59], v[142:143], v[176:179]// 000000004C54: D3D700B0 0EC31D3A
	buffer_load_dwordx4 a[120:123], v38, s[12:15], 0 offen     // 000000004C5C: E05C1000 80837826
	v_mfma_i32_16x16x32_i8 v[180:183], a[56:57], v[156:157], v[180:183]// 000000004C64: D3D700B4 0ED33938
	v_mfma_i32_16x16x32_i8 v[180:183], a[58:59], v[158:159], v[180:183]// 000000004C6C: D3D700B4 0ED33D3A
	v_mfma_i32_16x16x32_i8 v[184:187], a[60:61], v[140:141], v[184:187]// 000000004C74: D3D700B8 0EE3193C
	v_mfma_i32_16x16x32_i8 v[184:187], a[62:63], v[142:143], v[184:187]// 000000004C7C: D3D700B8 0EE31D3E
	buffer_load_dwordx4 a[124:127], v39, s[12:15], 0 offen     // 000000004C84: E05C1000 80837C27
	v_mfma_i32_16x16x32_i8 v[188:191], a[60:61], v[156:157], v[188:191]// 000000004C8C: D3D700BC 0EF3393C
	v_mfma_i32_16x16x32_i8 v[188:191], a[62:63], v[158:159], v[188:191]// 000000004C94: D3D700BC 0EF33D3E
	s_add_u32 s60, 0x200, s80                                  // 000000004C9C: 803C50FF 00000200
	s_cmp_lt_u32 s60, s81                                      // 000000004CA4: BF0A513C
	s_cselect_b32 s56, s56, 0                                  // 000000004CA8: 85388038
	s_cselect_b32 s78, s78, 0                                  // 000000004CAC: 854E804E
	s_cselect_b32 s79, s79, 0                                  // 000000004CB0: 854F804F
	s_add_u32 s12, s56, s12                                    // 000000004CB4: 800C0C38
	s_addc_u32 s13, 0, s13                                     // 000000004CB8: 820D0D80
	s_add_u32 s16, s79, s16                                    // 000000004CBC: 8010104F
	s_addc_u32 s17, 0, s17                                     // 000000004CC0: 82111180
	v_cvt_f32_i32_e32 v160, v160                               // 000000004CC4: 7F400BA0
	v_cvt_f32_i32_e32 v161, v161                               // 000000004CC8: 7F420BA1
	v_cvt_f32_i32_e32 v162, v162                               // 000000004CCC: 7F440BA2
	v_cvt_f32_i32_e32 v163, v163                               // 000000004CD0: 7F460BA3
	v_mul_f32_e32 v160, v22, v160                              // 000000004CD4: 0B414116
	v_mul_f32_e32 v161, v22, v161                              // 000000004CD8: 0B434316
	v_mul_f32_e32 v162, v22, v162                              // 000000004CDC: 0B454516
	v_mul_f32_e32 v163, v22, v163                              // 000000004CE0: 0B474716
	v_mul_f32_dpp v160, v11, v160 row_newbcast:0 row_mask:0xf bank_mask:0xf// 000000004CE4: 0B4140FA FF01500B
	v_mul_f32_dpp v161, v11, v161 row_newbcast:1 row_mask:0xf bank_mask:0xf// 000000004CEC: 0B4342FA FF01510B
	v_mul_f32_dpp v162, v11, v162 row_newbcast:2 row_mask:0xf bank_mask:0xf// 000000004CF4: 0B4544FA FF01520B
	v_mul_f32_dpp v163, v11, v163 row_newbcast:3 row_mask:0xf bank_mask:0xf// 000000004CFC: 0B4746FA FF01530B
	v_mul_f32_e32 v160, v17, v160                              // 000000004D04: 0B414111
	v_mul_f32_e32 v161, v17, v161                              // 000000004D08: 0B434311
	v_mul_f32_e32 v162, v17, v162                              // 000000004D0C: 0B454511
	v_mul_f32_e32 v163, v17, v163                              // 000000004D10: 0B474711
	v_cvt_f32_i32_e32 v164, v164                               // 000000004D14: 7F480BA4
	v_cvt_f32_i32_e32 v165, v165                               // 000000004D18: 7F4A0BA5
	v_cvt_f32_i32_e32 v166, v166                               // 000000004D1C: 7F4C0BA6
	v_cvt_f32_i32_e32 v167, v167                               // 000000004D20: 7F4E0BA7
	v_mul_f32_e32 v164, v23, v164                              // 000000004D24: 0B494917
	v_mul_f32_e32 v165, v23, v165                              // 000000004D28: 0B4B4B17
	v_mul_f32_e32 v166, v23, v166                              // 000000004D2C: 0B4D4D17
	v_mul_f32_e32 v167, v23, v167                              // 000000004D30: 0B4F4F17
	v_mul_f32_dpp v164, v11, v164 row_newbcast:0 row_mask:0xf bank_mask:0xf// 000000004D34: 0B4948FA FF01500B
	v_mul_f32_dpp v165, v11, v165 row_newbcast:1 row_mask:0xf bank_mask:0xf// 000000004D3C: 0B4B4AFA FF01510B
	v_mul_f32_dpp v166, v11, v166 row_newbcast:2 row_mask:0xf bank_mask:0xf// 000000004D44: 0B4D4CFA FF01520B
	v_mul_f32_dpp v167, v11, v167 row_newbcast:3 row_mask:0xf bank_mask:0xf// 000000004D4C: 0B4F4EFA FF01530B
	v_mul_f32_e32 v164, v18, v164                              // 000000004D54: 0B494912
	v_mul_f32_e32 v165, v18, v165                              // 000000004D58: 0B4B4B12
	v_mul_f32_e32 v166, v18, v166                              // 000000004D5C: 0B4D4D12
	v_mul_f32_e32 v167, v18, v167                              // 000000004D60: 0B4F4F12
	v_cvt_f32_i32_e32 v168, v168                               // 000000004D64: 7F500BA8
	v_cvt_f32_i32_e32 v169, v169                               // 000000004D68: 7F520BA9
	v_cvt_f32_i32_e32 v170, v170                               // 000000004D6C: 7F540BAA
	v_cvt_f32_i32_e32 v171, v171                               // 000000004D70: 7F560BAB
	v_mul_f32_e32 v168, v22, v168                              // 000000004D74: 0B515116
	v_mul_f32_e32 v169, v22, v169                              // 000000004D78: 0B535316
	v_mul_f32_e32 v170, v22, v170                              // 000000004D7C: 0B555516
	v_mul_f32_e32 v171, v22, v171                              // 000000004D80: 0B575716
	v_mul_f32_dpp v168, v11, v168 row_newbcast:4 row_mask:0xf bank_mask:0xf// 000000004D84: 0B5150FA FF01540B
	v_mul_f32_dpp v169, v11, v169 row_newbcast:5 row_mask:0xf bank_mask:0xf// 000000004D8C: 0B5352FA FF01550B
	v_mul_f32_dpp v170, v11, v170 row_newbcast:6 row_mask:0xf bank_mask:0xf// 000000004D94: 0B5554FA FF01560B
	v_mul_f32_dpp v171, v11, v171 row_newbcast:7 row_mask:0xf bank_mask:0xf// 000000004D9C: 0B5756FA FF01570B
	v_mul_f32_e32 v168, v17, v168                              // 000000004DA4: 0B515111
	v_mul_f32_e32 v169, v17, v169                              // 000000004DA8: 0B535311
	v_mul_f32_e32 v170, v17, v170                              // 000000004DAC: 0B555511
	v_mul_f32_e32 v171, v17, v171                              // 000000004DB0: 0B575711
	v_cvt_f32_i32_e32 v172, v172                               // 000000004DB4: 7F580BAC
	v_cvt_f32_i32_e32 v173, v173                               // 000000004DB8: 7F5A0BAD
	v_cvt_f32_i32_e32 v174, v174                               // 000000004DBC: 7F5C0BAE
	v_cvt_f32_i32_e32 v175, v175                               // 000000004DC0: 7F5E0BAF
	v_mul_f32_e32 v172, v23, v172                              // 000000004DC4: 0B595917
	v_mul_f32_e32 v173, v23, v173                              // 000000004DC8: 0B5B5B17
	v_mul_f32_e32 v174, v23, v174                              // 000000004DCC: 0B5D5D17
	v_mul_f32_e32 v175, v23, v175                              // 000000004DD0: 0B5F5F17
	v_mul_f32_dpp v172, v11, v172 row_newbcast:4 row_mask:0xf bank_mask:0xf// 000000004DD4: 0B5958FA FF01540B
	v_mul_f32_dpp v173, v11, v173 row_newbcast:5 row_mask:0xf bank_mask:0xf// 000000004DDC: 0B5B5AFA FF01550B
	v_mul_f32_dpp v174, v11, v174 row_newbcast:6 row_mask:0xf bank_mask:0xf// 000000004DE4: 0B5D5CFA FF01560B
	v_mul_f32_dpp v175, v11, v175 row_newbcast:7 row_mask:0xf bank_mask:0xf// 000000004DEC: 0B5F5EFA FF01570B
	v_mul_f32_e32 v172, v18, v172                              // 000000004DF4: 0B595912
	v_mul_f32_e32 v173, v18, v173                              // 000000004DF8: 0B5B5B12
	v_mul_f32_e32 v174, v18, v174                              // 000000004DFC: 0B5D5D12
	v_mul_f32_e32 v175, v18, v175                              // 000000004E00: 0B5F5F12
	v_cvt_f32_i32_e32 v176, v176                               // 000000004E04: 7F600BB0
	v_cvt_f32_i32_e32 v177, v177                               // 000000004E08: 7F620BB1
	v_cvt_f32_i32_e32 v178, v178                               // 000000004E0C: 7F640BB2
	v_cvt_f32_i32_e32 v179, v179                               // 000000004E10: 7F660BB3
	v_mul_f32_e32 v176, v22, v176                              // 000000004E14: 0B616116
	v_mul_f32_e32 v177, v22, v177                              // 000000004E18: 0B636316
	v_mul_f32_e32 v178, v22, v178                              // 000000004E1C: 0B656516
	v_mul_f32_e32 v179, v22, v179                              // 000000004E20: 0B676716
	v_mul_f32_dpp v176, v11, v176 row_newbcast:8 row_mask:0xf bank_mask:0xf// 000000004E24: 0B6160FA FF01580B
	v_mul_f32_dpp v177, v11, v177 row_newbcast:9 row_mask:0xf bank_mask:0xf// 000000004E2C: 0B6362FA FF01590B
	v_mul_f32_dpp v178, v11, v178 row_newbcast:10 row_mask:0xf bank_mask:0xf// 000000004E34: 0B6564FA FF015A0B
	v_mul_f32_dpp v179, v11, v179 row_newbcast:11 row_mask:0xf bank_mask:0xf// 000000004E3C: 0B6766FA FF015B0B
	v_mul_f32_e32 v176, v17, v176                              // 000000004E44: 0B616111
	v_mul_f32_e32 v177, v17, v177                              // 000000004E48: 0B636311
	v_mul_f32_e32 v178, v17, v178                              // 000000004E4C: 0B656511
	v_mul_f32_e32 v179, v17, v179                              // 000000004E50: 0B676711
	v_cvt_f32_i32_e32 v180, v180                               // 000000004E54: 7F680BB4
	v_cvt_f32_i32_e32 v181, v181                               // 000000004E58: 7F6A0BB5
	v_cvt_f32_i32_e32 v182, v182                               // 000000004E5C: 7F6C0BB6
	v_cvt_f32_i32_e32 v183, v183                               // 000000004E60: 7F6E0BB7
	v_mul_f32_e32 v180, v23, v180                              // 000000004E64: 0B696917
	v_mul_f32_e32 v181, v23, v181                              // 000000004E68: 0B6B6B17
	v_mul_f32_e32 v182, v23, v182                              // 000000004E6C: 0B6D6D17
	v_mul_f32_e32 v183, v23, v183                              // 000000004E70: 0B6F6F17
	v_mul_f32_dpp v180, v11, v180 row_newbcast:8 row_mask:0xf bank_mask:0xf// 000000004E74: 0B6968FA FF01580B
	v_mul_f32_dpp v181, v11, v181 row_newbcast:9 row_mask:0xf bank_mask:0xf// 000000004E7C: 0B6B6AFA FF01590B
	v_mul_f32_dpp v182, v11, v182 row_newbcast:10 row_mask:0xf bank_mask:0xf// 000000004E84: 0B6D6CFA FF015A0B
	v_mul_f32_dpp v183, v11, v183 row_newbcast:11 row_mask:0xf bank_mask:0xf// 000000004E8C: 0B6F6EFA FF015B0B
	v_mul_f32_e32 v180, v18, v180                              // 000000004E94: 0B696912
	v_mul_f32_e32 v181, v18, v181                              // 000000004E98: 0B6B6B12
	v_mul_f32_e32 v182, v18, v182                              // 000000004E9C: 0B6D6D12
	v_mul_f32_e32 v183, v18, v183                              // 000000004EA0: 0B6F6F12
	v_cvt_f32_i32_e32 v184, v184                               // 000000004EA4: 7F700BB8
	v_cvt_f32_i32_e32 v185, v185                               // 000000004EA8: 7F720BB9
	v_cvt_f32_i32_e32 v186, v186                               // 000000004EAC: 7F740BBA
	v_cvt_f32_i32_e32 v187, v187                               // 000000004EB0: 7F760BBB
	v_mul_f32_e32 v184, v22, v184                              // 000000004EB4: 0B717116
	v_mul_f32_e32 v185, v22, v185                              // 000000004EB8: 0B737316
	v_mul_f32_e32 v186, v22, v186                              // 000000004EBC: 0B757516
	v_mul_f32_e32 v187, v22, v187                              // 000000004EC0: 0B777716
	v_mul_f32_dpp v184, v11, v184 row_newbcast:12 row_mask:0xf bank_mask:0xf// 000000004EC4: 0B7170FA FF015C0B
	v_mul_f32_dpp v185, v11, v185 row_newbcast:13 row_mask:0xf bank_mask:0xf// 000000004ECC: 0B7372FA FF015D0B
	v_mul_f32_dpp v186, v11, v186 row_newbcast:14 row_mask:0xf bank_mask:0xf// 000000004ED4: 0B7574FA FF015E0B
	v_mul_f32_dpp v187, v11, v187 row_newbcast:15 row_mask:0xf bank_mask:0xf// 000000004EDC: 0B7776FA FF015F0B
	v_mul_f32_e32 v184, v17, v184                              // 000000004EE4: 0B717111
	v_mul_f32_e32 v185, v17, v185                              // 000000004EE8: 0B737311
	v_mul_f32_e32 v186, v17, v186                              // 000000004EEC: 0B757511
	v_mul_f32_e32 v187, v17, v187                              // 000000004EF0: 0B777711
	v_cvt_f32_i32_e32 v188, v188                               // 000000004EF4: 7F780BBC
	v_cvt_f32_i32_e32 v189, v189                               // 000000004EF8: 7F7A0BBD
	v_cvt_f32_i32_e32 v190, v190                               // 000000004EFC: 7F7C0BBE
	v_cvt_f32_i32_e32 v191, v191                               // 000000004F00: 7F7E0BBF
	v_mul_f32_e32 v188, v23, v188                              // 000000004F04: 0B797917
	v_mul_f32_e32 v189, v23, v189                              // 000000004F08: 0B7B7B17
	v_mul_f32_e32 v190, v23, v190                              // 000000004F0C: 0B7D7D17
	v_mul_f32_e32 v191, v23, v191                              // 000000004F10: 0B7F7F17
	v_mul_f32_dpp v188, v11, v188 row_newbcast:12 row_mask:0xf bank_mask:0xf// 000000004F14: 0B7978FA FF015C0B
	v_mul_f32_dpp v189, v11, v189 row_newbcast:13 row_mask:0xf bank_mask:0xf// 000000004F1C: 0B7B7AFA FF015D0B
	v_mul_f32_dpp v190, v11, v190 row_newbcast:14 row_mask:0xf bank_mask:0xf// 000000004F24: 0B7D7CFA FF015E0B
	v_mul_f32_dpp v191, v11, v191 row_newbcast:15 row_mask:0xf bank_mask:0xf// 000000004F2C: 0B7F7EFA FF015F0B
	v_mul_f32_e32 v188, v18, v188                              // 000000004F34: 0B797912
	v_mul_f32_e32 v189, v18, v189                              // 000000004F38: 0B7B7B12
	v_mul_f32_e32 v190, v18, v190                              // 000000004F3C: 0B7D7D12
	v_mul_f32_e32 v191, v18, v191                              // 000000004F40: 0B7F7F12
	v_cmp_u_f32_e64 s[48:49], v160, v160                       // 000000004F44: D0480030 000341A0
	v_add3_u32 v40, v160, v43, 1                               // 000000004F4C: D1FF0028 020657A0
	v_cndmask_b32_e64 v44, v40, v42, s[48:49]                  // 000000004F54: D100002C 00C25528
	v_cmp_u_f32_e64 s[48:49], v161, v161                       // 000000004F5C: D0480030 000343A1
	v_add3_u32 v40, v161, v43, 1                               // 000000004F64: D1FF0028 020657A1
	v_cndmask_b32_e64 v45, v40, v42, s[48:49]                  // 000000004F6C: D100002D 00C25528
	v_perm_b32 v160, v45, v44, s52                             // 000000004F74: D1ED00A0 00D2592D
	v_cmp_u_f32_e64 s[48:49], v162, v162                       // 000000004F7C: D0480030 000345A2
	v_add3_u32 v40, v162, v43, 1                               // 000000004F84: D1FF0028 020657A2
	v_cndmask_b32_e64 v44, v40, v42, s[48:49]                  // 000000004F8C: D100002C 00C25528
	v_cmp_u_f32_e64 s[48:49], v163, v163                       // 000000004F94: D0480030 000347A3
	v_add3_u32 v40, v163, v43, 1                               // 000000004F9C: D1FF0028 020657A3
	v_cndmask_b32_e64 v45, v40, v42, s[48:49]                  // 000000004FA4: D100002D 00C25528
	v_perm_b32 v161, v45, v44, s52                             // 000000004FAC: D1ED00A1 00D2592D
	v_cmp_u_f32_e64 s[48:49], v164, v164                       // 000000004FB4: D0480030 000349A4
	v_add3_u32 v40, v164, v43, 1                               // 000000004FBC: D1FF0028 020657A4
	v_cndmask_b32_e64 v44, v40, v42, s[48:49]                  // 000000004FC4: D100002C 00C25528
	v_cmp_u_f32_e64 s[48:49], v165, v165                       // 000000004FCC: D0480030 00034BA5
	v_add3_u32 v40, v165, v43, 1                               // 000000004FD4: D1FF0028 020657A5
	v_cndmask_b32_e64 v45, v40, v42, s[48:49]                  // 000000004FDC: D100002D 00C25528
	v_perm_b32 v162, v45, v44, s52                             // 000000004FE4: D1ED00A2 00D2592D
	v_cmp_u_f32_e64 s[48:49], v166, v166                       // 000000004FEC: D0480030 00034DA6
	v_add3_u32 v40, v166, v43, 1                               // 000000004FF4: D1FF0028 020657A6
	v_cndmask_b32_e64 v44, v40, v42, s[48:49]                  // 000000004FFC: D100002C 00C25528
	v_cmp_u_f32_e64 s[48:49], v167, v167                       // 000000005004: D0480030 00034FA7
	v_add3_u32 v40, v167, v43, 1                               // 00000000500C: D1FF0028 020657A7
	v_cndmask_b32_e64 v45, v40, v42, s[48:49]                  // 000000005014: D100002D 00C25528
	v_perm_b32 v163, v45, v44, s52                             // 00000000501C: D1ED00A3 00D2592D
	v_cmp_u_f32_e64 s[48:49], v168, v168                       // 000000005024: D0480030 000351A8
	v_add3_u32 v40, v168, v43, 1                               // 00000000502C: D1FF0028 020657A8
	v_cndmask_b32_e64 v44, v40, v42, s[48:49]                  // 000000005034: D100002C 00C25528
	v_cmp_u_f32_e64 s[48:49], v169, v169                       // 00000000503C: D0480030 000353A9
	v_add3_u32 v40, v169, v43, 1                               // 000000005044: D1FF0028 020657A9
	v_cndmask_b32_e64 v45, v40, v42, s[48:49]                  // 00000000504C: D100002D 00C25528
	v_perm_b32 v164, v45, v44, s52                             // 000000005054: D1ED00A4 00D2592D
	v_cmp_u_f32_e64 s[48:49], v170, v170                       // 00000000505C: D0480030 000355AA
	v_add3_u32 v40, v170, v43, 1                               // 000000005064: D1FF0028 020657AA
	v_cndmask_b32_e64 v44, v40, v42, s[48:49]                  // 00000000506C: D100002C 00C25528
	v_cmp_u_f32_e64 s[48:49], v171, v171                       // 000000005074: D0480030 000357AB
	v_add3_u32 v40, v171, v43, 1                               // 00000000507C: D1FF0028 020657AB
	v_cndmask_b32_e64 v45, v40, v42, s[48:49]                  // 000000005084: D100002D 00C25528
	v_perm_b32 v165, v45, v44, s52                             // 00000000508C: D1ED00A5 00D2592D
	v_cmp_u_f32_e64 s[48:49], v172, v172                       // 000000005094: D0480030 000359AC
	v_add3_u32 v40, v172, v43, 1                               // 00000000509C: D1FF0028 020657AC
	v_cndmask_b32_e64 v44, v40, v42, s[48:49]                  // 0000000050A4: D100002C 00C25528
	v_cmp_u_f32_e64 s[48:49], v173, v173                       // 0000000050AC: D0480030 00035BAD
	v_add3_u32 v40, v173, v43, 1                               // 0000000050B4: D1FF0028 020657AD
	v_cndmask_b32_e64 v45, v40, v42, s[48:49]                  // 0000000050BC: D100002D 00C25528
	v_perm_b32 v166, v45, v44, s52                             // 0000000050C4: D1ED00A6 00D2592D
	v_cmp_u_f32_e64 s[48:49], v174, v174                       // 0000000050CC: D0480030 00035DAE
	v_add3_u32 v40, v174, v43, 1                               // 0000000050D4: D1FF0028 020657AE
	v_cndmask_b32_e64 v44, v40, v42, s[48:49]                  // 0000000050DC: D100002C 00C25528
	v_cmp_u_f32_e64 s[48:49], v175, v175                       // 0000000050E4: D0480030 00035FAF
	v_add3_u32 v40, v175, v43, 1                               // 0000000050EC: D1FF0028 020657AF
	v_cndmask_b32_e64 v45, v40, v42, s[48:49]                  // 0000000050F4: D100002D 00C25528
	v_perm_b32 v167, v45, v44, s52                             // 0000000050FC: D1ED00A7 00D2592D
	v_cmp_u_f32_e64 s[48:49], v176, v176                       // 000000005104: D0480030 000361B0
	v_add3_u32 v40, v176, v43, 1                               // 00000000510C: D1FF0028 020657B0
	v_cndmask_b32_e64 v44, v40, v42, s[48:49]                  // 000000005114: D100002C 00C25528
	v_cmp_u_f32_e64 s[48:49], v177, v177                       // 00000000511C: D0480030 000363B1
	v_add3_u32 v40, v177, v43, 1                               // 000000005124: D1FF0028 020657B1
	v_cndmask_b32_e64 v45, v40, v42, s[48:49]                  // 00000000512C: D100002D 00C25528
	v_perm_b32 v168, v45, v44, s52                             // 000000005134: D1ED00A8 00D2592D
	v_cmp_u_f32_e64 s[48:49], v178, v178                       // 00000000513C: D0480030 000365B2
	v_add3_u32 v40, v178, v43, 1                               // 000000005144: D1FF0028 020657B2
	v_cndmask_b32_e64 v44, v40, v42, s[48:49]                  // 00000000514C: D100002C 00C25528
	v_cmp_u_f32_e64 s[48:49], v179, v179                       // 000000005154: D0480030 000367B3
	v_add3_u32 v40, v179, v43, 1                               // 00000000515C: D1FF0028 020657B3
	v_cndmask_b32_e64 v45, v40, v42, s[48:49]                  // 000000005164: D100002D 00C25528
	v_perm_b32 v169, v45, v44, s52                             // 00000000516C: D1ED00A9 00D2592D
	v_cmp_u_f32_e64 s[48:49], v180, v180                       // 000000005174: D0480030 000369B4
	v_add3_u32 v40, v180, v43, 1                               // 00000000517C: D1FF0028 020657B4
	v_cndmask_b32_e64 v44, v40, v42, s[48:49]                  // 000000005184: D100002C 00C25528
	v_cmp_u_f32_e64 s[48:49], v181, v181                       // 00000000518C: D0480030 00036BB5
	v_add3_u32 v40, v181, v43, 1                               // 000000005194: D1FF0028 020657B5
	v_cndmask_b32_e64 v45, v40, v42, s[48:49]                  // 00000000519C: D100002D 00C25528
	v_perm_b32 v170, v45, v44, s52                             // 0000000051A4: D1ED00AA 00D2592D
	v_cmp_u_f32_e64 s[48:49], v182, v182                       // 0000000051AC: D0480030 00036DB6
	v_add3_u32 v40, v182, v43, 1                               // 0000000051B4: D1FF0028 020657B6
	v_cndmask_b32_e64 v44, v40, v42, s[48:49]                  // 0000000051BC: D100002C 00C25528
	v_cmp_u_f32_e64 s[48:49], v183, v183                       // 0000000051C4: D0480030 00036FB7
	v_add3_u32 v40, v183, v43, 1                               // 0000000051CC: D1FF0028 020657B7
	v_cndmask_b32_e64 v45, v40, v42, s[48:49]                  // 0000000051D4: D100002D 00C25528
	v_perm_b32 v171, v45, v44, s52                             // 0000000051DC: D1ED00AB 00D2592D
	v_cmp_u_f32_e64 s[48:49], v184, v184                       // 0000000051E4: D0480030 000371B8
	v_add3_u32 v40, v184, v43, 1                               // 0000000051EC: D1FF0028 020657B8
	v_cndmask_b32_e64 v44, v40, v42, s[48:49]                  // 0000000051F4: D100002C 00C25528
	v_cmp_u_f32_e64 s[48:49], v185, v185                       // 0000000051FC: D0480030 000373B9
	v_add3_u32 v40, v185, v43, 1                               // 000000005204: D1FF0028 020657B9
	v_cndmask_b32_e64 v45, v40, v42, s[48:49]                  // 00000000520C: D100002D 00C25528
	v_perm_b32 v172, v45, v44, s52                             // 000000005214: D1ED00AC 00D2592D
	v_cmp_u_f32_e64 s[48:49], v186, v186                       // 00000000521C: D0480030 000375BA
	v_add3_u32 v40, v186, v43, 1                               // 000000005224: D1FF0028 020657BA
	v_cndmask_b32_e64 v44, v40, v42, s[48:49]                  // 00000000522C: D100002C 00C25528
	v_cmp_u_f32_e64 s[48:49], v187, v187                       // 000000005234: D0480030 000377BB
	v_add3_u32 v40, v187, v43, 1                               // 00000000523C: D1FF0028 020657BB
	v_cndmask_b32_e64 v45, v40, v42, s[48:49]                  // 000000005244: D100002D 00C25528
	v_perm_b32 v173, v45, v44, s52                             // 00000000524C: D1ED00AD 00D2592D
	v_cmp_u_f32_e64 s[48:49], v188, v188                       // 000000005254: D0480030 000379BC
	v_add3_u32 v40, v188, v43, 1                               // 00000000525C: D1FF0028 020657BC
	v_cndmask_b32_e64 v44, v40, v42, s[48:49]                  // 000000005264: D100002C 00C25528
	v_cmp_u_f32_e64 s[48:49], v189, v189                       // 00000000526C: D0480030 00037BBD
	v_add3_u32 v40, v189, v43, 1                               // 000000005274: D1FF0028 020657BD
	v_cndmask_b32_e64 v45, v40, v42, s[48:49]                  // 00000000527C: D100002D 00C25528
	v_perm_b32 v174, v45, v44, s52                             // 000000005284: D1ED00AE 00D2592D
	v_cmp_u_f32_e64 s[48:49], v190, v190                       // 00000000528C: D0480030 00037DBE
	v_add3_u32 v40, v190, v43, 1                               // 000000005294: D1FF0028 020657BE
	v_cndmask_b32_e64 v44, v40, v42, s[48:49]                  // 00000000529C: D100002C 00C25528
	v_cmp_u_f32_e64 s[48:49], v191, v191                       // 0000000052A4: D0480030 00037FBF
	v_add3_u32 v40, v191, v43, 1                               // 0000000052AC: D1FF0028 020657BF
	v_cndmask_b32_e64 v45, v40, v42, s[48:49]                  // 0000000052B4: D100002D 00C25528
	v_perm_b32 v175, v45, v44, s52                             // 0000000052BC: D1ED00AF 00D2592D
	ds_write_b64 v3, v[160:161] offset:26880                   // 0000000052C4: D89A6900 0000A003
	ds_write_b64 v3, v[162:163] offset:35584                   // 0000000052CC: D89A8B00 0000A203
	ds_write_b64 v3, v[164:165] offset:29056                   // 0000000052D4: D89A7180 0000A403
	ds_write_b64 v3, v[166:167] offset:37760                   // 0000000052DC: D89A9380 0000A603
	ds_write_b64 v3, v[168:169] offset:31232                   // 0000000052E4: D89A7A00 0000A803
	ds_write_b64 v3, v[170:171] offset:39936                   // 0000000052EC: D89A9C00 0000AA03
	ds_write_b64 v3, v[172:173] offset:33408                   // 0000000052F4: D89A8280 0000AC03
	ds_write_b64 v3, v[174:175] offset:42112                   // 0000000052FC: D89AA480 0000AE03
	s_waitcnt lgkmcnt(0)                                       // 000000005304: BF8CC07F
	s_barrier                                                  // 000000005308: BF8A0000
	ds_read_b32 v64, v4 offset:26880                           // 00000000530C: D86C6900 40000004
	ds_read_b32 v65, v4 offset:31232                           // 000000005314: D86C7A00 41000004
	ds_read_b32 v66, v4 offset:26912                           // 00000000531C: D86C6920 42000004
	ds_read_b32 v67, v4 offset:31264                           // 000000005324: D86C7A20 43000004
	ds_read_b32 v68, v4 offset:26944                           // 00000000532C: D86C6940 44000004
	ds_read_b32 v69, v4 offset:31296                           // 000000005334: D86C7A40 45000004
	ds_read_b32 v70, v4 offset:26976                           // 00000000533C: D86C6960 46000004
	ds_read_b32 v71, v4 offset:31328                           // 000000005344: D86C7A60 47000004
	ds_read_b32 v72, v4 offset:35584                           // 00000000534C: D86C8B00 48000004
	ds_read_b32 v73, v4 offset:39936                           // 000000005354: D86C9C00 49000004
	ds_read_b32 v74, v4 offset:35616                           // 00000000535C: D86C8B20 4A000004
	ds_read_b32 v75, v4 offset:39968                           // 000000005364: D86C9C20 4B000004
	ds_read_b32 v76, v4 offset:35648                           // 00000000536C: D86C8B40 4C000004
	ds_read_b32 v77, v4 offset:40000                           // 000000005374: D86C9C40 4D000004
	ds_read_b32 v78, v4 offset:35680                           // 00000000537C: D86C8B60 4E000004
	ds_read_b32 v79, v4 offset:40032                           // 000000005384: D86C9C60 4F000004
	s_waitcnt lgkmcnt(0)                                       // 00000000538C: BF8CC07F
	s_mov_b64 exec, s[20:21]                                   // 000000005390: BEFE0114
	global_atomic_pk_add_bf16 v80, v64, s[8:9]                 // 000000005394: DD488000 00084050
	s_mov_b64 exec, s[36:37]                                   // 00000000539C: BEFE0124
	s_mov_b64 exec, s[20:21]                                   // 0000000053A0: BEFE0114
	global_atomic_pk_add_bf16 v80, v65, s[8:9] offset:256      // 0000000053A4: DD488100 00084150
	s_mov_b64 exec, s[36:37]                                   // 0000000053AC: BEFE0124
	s_mov_b64 exec, s[22:23]                                   // 0000000053B0: BEFE0116
	global_atomic_pk_add_bf16 v82, v66, s[8:9]                 // 0000000053B4: DD488000 00084252
	s_mov_b64 exec, s[36:37]                                   // 0000000053BC: BEFE0124
	s_mov_b64 exec, s[22:23]                                   // 0000000053C0: BEFE0116
	global_atomic_pk_add_bf16 v82, v67, s[8:9] offset:256      // 0000000053C4: DD488100 00084352
	s_mov_b64 exec, s[36:37]                                   // 0000000053CC: BEFE0124
	s_mov_b64 exec, s[24:25]                                   // 0000000053D0: BEFE0118
	global_atomic_pk_add_bf16 v84, v68, s[8:9]                 // 0000000053D4: DD488000 00084454
	s_mov_b64 exec, s[36:37]                                   // 0000000053DC: BEFE0124
	s_mov_b64 exec, s[24:25]                                   // 0000000053E0: BEFE0118
	global_atomic_pk_add_bf16 v84, v69, s[8:9] offset:256      // 0000000053E4: DD488100 00084554
	s_mov_b64 exec, s[36:37]                                   // 0000000053EC: BEFE0124
	s_mov_b64 exec, s[26:27]                                   // 0000000053F0: BEFE011A
	global_atomic_pk_add_bf16 v86, v70, s[8:9]                 // 0000000053F4: DD488000 00084656
	s_mov_b64 exec, s[36:37]                                   // 0000000053FC: BEFE0124
	s_mov_b64 exec, s[26:27]                                   // 000000005400: BEFE011A
	global_atomic_pk_add_bf16 v86, v71, s[8:9] offset:256      // 000000005404: DD488100 00084756
	s_mov_b64 exec, s[36:37]                                   // 00000000540C: BEFE0124
	s_mov_b64 exec, s[28:29]                                   // 000000005410: BEFE011C
	global_atomic_pk_add_bf16 v88, v72, s[8:9]                 // 000000005414: DD488000 00084858
	s_mov_b64 exec, s[36:37]                                   // 00000000541C: BEFE0124
	s_mov_b64 exec, s[28:29]                                   // 000000005420: BEFE011C
	global_atomic_pk_add_bf16 v88, v73, s[8:9] offset:256      // 000000005424: DD488100 00084958
	s_mov_b64 exec, s[36:37]                                   // 00000000542C: BEFE0124
	s_mov_b64 exec, s[30:31]                                   // 000000005430: BEFE011E
	global_atomic_pk_add_bf16 v90, v74, s[8:9]                 // 000000005434: DD488000 00084A5A
	s_mov_b64 exec, s[36:37]                                   // 00000000543C: BEFE0124
	s_mov_b64 exec, s[30:31]                                   // 000000005440: BEFE011E
	global_atomic_pk_add_bf16 v90, v75, s[8:9] offset:256      // 000000005444: DD488100 00084B5A
	s_mov_b64 exec, s[36:37]                                   // 00000000544C: BEFE0124
	s_mov_b64 exec, s[32:33]                                   // 000000005450: BEFE0120
	global_atomic_pk_add_bf16 v92, v76, s[8:9]                 // 000000005454: DD488000 00084C5C
	s_mov_b64 exec, s[36:37]                                   // 00000000545C: BEFE0124
	s_mov_b64 exec, s[32:33]                                   // 000000005460: BEFE0120
	global_atomic_pk_add_bf16 v92, v77, s[8:9] offset:256      // 000000005464: DD488100 00084D5C
	s_mov_b64 exec, s[36:37]                                   // 00000000546C: BEFE0124
	s_mov_b64 exec, s[34:35]                                   // 000000005470: BEFE0122
	global_atomic_pk_add_bf16 v94, v78, s[8:9]                 // 000000005474: DD488000 00084E5E
	s_mov_b64 exec, s[36:37]                                   // 00000000547C: BEFE0124
	s_mov_b64 exec, s[34:35]                                   // 000000005480: BEFE0122
	global_atomic_pk_add_bf16 v94, v79, s[8:9] offset:256      // 000000005484: DD488100 00084F5E
	s_mov_b64 exec, s[36:37]                                   // 00000000548C: BEFE0124
	s_add_u32 s8, s59, s8                                      // 000000005490: 8008083B
	s_addc_u32 s9, 0, s9                                       // 000000005494: 82090980
	s_addk_i32 s80, 0x100                                      // 000000005498: B7500100
	s_cmp_lt_i32 s80, s81                                      // 00000000549C: BF045150
	s_cbranch_scc0 label_0D19                                  // 0000000054A0: BF8402B0
	s_waitcnt vmcnt(29)                                        // 0000000054A4: BF8C4F7D
	s_barrier                                                  // 0000000054A8: BF8A0000
	v_mfma_i32_16x16x32_i8 v[192:195], a[64:65], v[128:129], 0 // 0000000054AC: D3D700C0 0A030140
	v_mfma_i32_16x16x32_i8 v[192:195], a[66:67], v[130:131], v[192:195]// 0000000054B4: D3D700C0 0F030542
	buffer_load_dwordx4 a[0:3], v36, s[12:15], 0 offen         // 0000000054BC: E05C1000 80830024
	v_mfma_i32_16x16x32_i8 v[196:199], a[64:65], v[144:145], 0 // 0000000054C4: D3D700C4 0A032140
	v_mfma_i32_16x16x32_i8 v[196:199], a[66:67], v[146:147], v[196:199]// 0000000054CC: D3D700C4 0F132542
	v_mfma_i32_16x16x32_i8 v[200:203], a[68:69], v[128:129], 0 // 0000000054D4: D3D700C8 0A030144
	v_mfma_i32_16x16x32_i8 v[200:203], a[70:71], v[130:131], v[200:203]// 0000000054DC: D3D700C8 0F230546
	buffer_load_dwordx4 a[4:7], v37, s[12:15], 0 offen         // 0000000054E4: E05C1000 80830425
	v_mfma_i32_16x16x32_i8 v[204:207], a[68:69], v[144:145], 0 // 0000000054EC: D3D700CC 0A032144
	v_mfma_i32_16x16x32_i8 v[204:207], a[70:71], v[146:147], v[204:207]// 0000000054F4: D3D700CC 0F332546
	v_mfma_i32_16x16x32_i8 v[208:211], a[72:73], v[128:129], 0 // 0000000054FC: D3D700D0 0A030148
	v_mfma_i32_16x16x32_i8 v[208:211], a[74:75], v[130:131], v[208:211]// 000000005504: D3D700D0 0F43054A
	buffer_load_dwordx4 a[8:11], v38, s[12:15], 0 offen        // 00000000550C: E05C1000 80830826
	v_mfma_i32_16x16x32_i8 v[212:215], a[72:73], v[144:145], 0 // 000000005514: D3D700D4 0A032148
	v_mfma_i32_16x16x32_i8 v[212:215], a[74:75], v[146:147], v[212:215]// 00000000551C: D3D700D4 0F53254A
	v_mfma_i32_16x16x32_i8 v[216:219], a[76:77], v[128:129], 0 // 000000005524: D3D700D8 0A03014C
	v_mfma_i32_16x16x32_i8 v[216:219], a[78:79], v[130:131], v[216:219]// 00000000552C: D3D700D8 0F63054E
	buffer_load_dwordx4 a[12:15], v39, s[12:15], 0 offen       // 000000005534: E05C1000 80830C27
	s_add_u32 s12, s78, s12                                    // 00000000553C: 800C0C4E
	s_addc_u32 s13, 0, s13                                     // 000000005540: 820D0D80
	v_mfma_i32_16x16x32_i8 v[220:223], a[76:77], v[144:145], 0 // 000000005544: D3D700DC 0A03214C
	v_mfma_i32_16x16x32_i8 v[220:223], a[78:79], v[146:147], v[220:223]// 00000000554C: D3D700DC 0F73254E
	s_waitcnt vmcnt(29)                                        // 000000005554: BF8C4F7D
	v_mfma_i32_16x16x32_i8 v[192:195], a[80:81], v[132:133], v[192:195]// 000000005558: D3D700C0 0F030950
	v_mfma_i32_16x16x32_i8 v[192:195], a[82:83], v[134:135], v[192:195]// 000000005560: D3D700C0 0F030D52
	buffer_load_dwordx4 a[16:19], v36, s[12:15], 0 offen       // 000000005568: E05C1000 80831024
	v_mfma_i32_16x16x32_i8 v[196:199], a[80:81], v[148:149], v[196:199]// 000000005570: D3D700C4 0F132950
	v_mfma_i32_16x16x32_i8 v[196:199], a[82:83], v[150:151], v[196:199]// 000000005578: D3D700C4 0F132D52
	v_mfma_i32_16x16x32_i8 v[200:203], a[84:85], v[132:133], v[200:203]// 000000005580: D3D700C8 0F230954
	v_mfma_i32_16x16x32_i8 v[200:203], a[86:87], v[134:135], v[200:203]// 000000005588: D3D700C8 0F230D56
	buffer_load_dwordx4 a[20:23], v37, s[12:15], 0 offen       // 000000005590: E05C1000 80831425
	v_mfma_i32_16x16x32_i8 v[204:207], a[84:85], v[148:149], v[204:207]// 000000005598: D3D700CC 0F332954
	v_mfma_i32_16x16x32_i8 v[204:207], a[86:87], v[150:151], v[204:207]// 0000000055A0: D3D700CC 0F332D56
	v_mfma_i32_16x16x32_i8 v[208:211], a[88:89], v[132:133], v[208:211]// 0000000055A8: D3D700D0 0F430958
	v_mfma_i32_16x16x32_i8 v[208:211], a[90:91], v[134:135], v[208:211]// 0000000055B0: D3D700D0 0F430D5A
	buffer_load_dwordx4 a[24:27], v38, s[12:15], 0 offen       // 0000000055B8: E05C1000 80831826
	v_mfma_i32_16x16x32_i8 v[212:215], a[88:89], v[148:149], v[212:215]// 0000000055C0: D3D700D4 0F532958
	v_mfma_i32_16x16x32_i8 v[212:215], a[90:91], v[150:151], v[212:215]// 0000000055C8: D3D700D4 0F532D5A
	v_mfma_i32_16x16x32_i8 v[216:219], a[92:93], v[132:133], v[216:219]// 0000000055D0: D3D700D8 0F63095C
	v_mfma_i32_16x16x32_i8 v[216:219], a[94:95], v[134:135], v[216:219]// 0000000055D8: D3D700D8 0F630D5E
	buffer_load_dwordx4 a[28:31], v39, s[12:15], 0 offen       // 0000000055E0: E05C1000 80831C27
	s_add_u32 s12, s78, s12                                    // 0000000055E8: 800C0C4E
	s_addc_u32 s13, 0, s13                                     // 0000000055EC: 820D0D80
	v_mfma_i32_16x16x32_i8 v[220:223], a[92:93], v[148:149], v[220:223]// 0000000055F0: D3D700DC 0F73295C
	v_mfma_i32_16x16x32_i8 v[220:223], a[94:95], v[150:151], v[220:223]// 0000000055F8: D3D700DC 0F732D5E
	s_waitcnt vmcnt(29)                                        // 000000005600: BF8C4F7D
	v_mfma_i32_16x16x32_i8 v[192:195], a[96:97], v[136:137], v[192:195]// 000000005604: D3D700C0 0F031160
	v_mfma_i32_16x16x32_i8 v[192:195], a[98:99], v[138:139], v[192:195]// 00000000560C: D3D700C0 0F031562
	buffer_load_dwordx4 a[32:35], v36, s[12:15], 0 offen       // 000000005614: E05C1000 80832024
	v_mfma_i32_16x16x32_i8 v[196:199], a[96:97], v[152:153], v[196:199]// 00000000561C: D3D700C4 0F133160
	v_mfma_i32_16x16x32_i8 v[196:199], a[98:99], v[154:155], v[196:199]// 000000005624: D3D700C4 0F133562
	v_mfma_i32_16x16x32_i8 v[200:203], a[100:101], v[136:137], v[200:203]// 00000000562C: D3D700C8 0F231164
	v_mfma_i32_16x16x32_i8 v[200:203], a[102:103], v[138:139], v[200:203]// 000000005634: D3D700C8 0F231566
	buffer_load_dwordx4 a[36:39], v37, s[12:15], 0 offen       // 00000000563C: E05C1000 80832425
	v_mfma_i32_16x16x32_i8 v[204:207], a[100:101], v[152:153], v[204:207]// 000000005644: D3D700CC 0F333164
	v_mfma_i32_16x16x32_i8 v[204:207], a[102:103], v[154:155], v[204:207]// 00000000564C: D3D700CC 0F333566
	v_mfma_i32_16x16x32_i8 v[208:211], a[104:105], v[136:137], v[208:211]// 000000005654: D3D700D0 0F431168
	v_mfma_i32_16x16x32_i8 v[208:211], a[106:107], v[138:139], v[208:211]// 00000000565C: D3D700D0 0F43156A
	buffer_load_dwordx4 a[40:43], v38, s[12:15], 0 offen       // 000000005664: E05C1000 80832826
	v_mfma_i32_16x16x32_i8 v[212:215], a[104:105], v[152:153], v[212:215]// 00000000566C: D3D700D4 0F533168
	v_mfma_i32_16x16x32_i8 v[212:215], a[106:107], v[154:155], v[212:215]// 000000005674: D3D700D4 0F53356A
	v_mfma_i32_16x16x32_i8 v[216:219], a[108:109], v[136:137], v[216:219]// 00000000567C: D3D700D8 0F63116C
	v_mfma_i32_16x16x32_i8 v[216:219], a[110:111], v[138:139], v[216:219]// 000000005684: D3D700D8 0F63156E
	buffer_load_dwordx4 a[44:47], v39, s[12:15], 0 offen       // 00000000568C: E05C1000 80832C27
	s_add_u32 s12, s78, s12                                    // 000000005694: 800C0C4E
	s_addc_u32 s13, 0, s13                                     // 000000005698: 820D0D80
	v_mfma_i32_16x16x32_i8 v[220:223], a[108:109], v[152:153], v[220:223]// 00000000569C: D3D700DC 0F73316C
	v_mfma_i32_16x16x32_i8 v[220:223], a[110:111], v[154:155], v[220:223]// 0000000056A4: D3D700DC 0F73356E
	s_waitcnt vmcnt(28)                                        // 0000000056AC: BF8C4F7C
	v_mfma_i32_16x16x32_i8 v[192:195], a[112:113], v[140:141], v[192:195]// 0000000056B0: D3D700C0 0F031970
	v_mfma_i32_16x16x32_i8 v[192:195], a[114:115], v[142:143], v[192:195]// 0000000056B8: D3D700C0 0F031D72
	buffer_load_dwordx4 a[48:51], v36, s[12:15], 0 offen       // 0000000056C0: E05C1000 80833024
	v_mfma_i32_16x16x32_i8 v[196:199], a[112:113], v[156:157], v[196:199]// 0000000056C8: D3D700C4 0F133970
	v_mfma_i32_16x16x32_i8 v[196:199], a[114:115], v[158:159], v[196:199]// 0000000056D0: D3D700C4 0F133D72
	buffer_load_dword v11, v5, s[16:19], 0 offen               // 0000000056D8: E0501000 80040B05
	v_mfma_i32_16x16x32_i8 v[200:203], a[116:117], v[140:141], v[200:203]// 0000000056E0: D3D700C8 0F231974
	v_mfma_i32_16x16x32_i8 v[200:203], a[118:119], v[142:143], v[200:203]// 0000000056E8: D3D700C8 0F231D76
	buffer_load_dwordx4 a[52:55], v37, s[12:15], 0 offen       // 0000000056F0: E05C1000 80833425
	v_mfma_i32_16x16x32_i8 v[204:207], a[116:117], v[156:157], v[204:207]// 0000000056F8: D3D700CC 0F333974
	v_mfma_i32_16x16x32_i8 v[204:207], a[118:119], v[158:159], v[204:207]// 000000005700: D3D700CC 0F333D76
	v_mfma_i32_16x16x32_i8 v[208:211], a[120:121], v[140:141], v[208:211]// 000000005708: D3D700D0 0F431978
	v_mfma_i32_16x16x32_i8 v[208:211], a[122:123], v[142:143], v[208:211]// 000000005710: D3D700D0 0F431D7A
	buffer_load_dwordx4 a[56:59], v38, s[12:15], 0 offen       // 000000005718: E05C1000 80833826
	v_mfma_i32_16x16x32_i8 v[212:215], a[120:121], v[156:157], v[212:215]// 000000005720: D3D700D4 0F533978
	v_mfma_i32_16x16x32_i8 v[212:215], a[122:123], v[158:159], v[212:215]// 000000005728: D3D700D4 0F533D7A
	v_mfma_i32_16x16x32_i8 v[216:219], a[124:125], v[140:141], v[216:219]// 000000005730: D3D700D8 0F63197C
	v_mfma_i32_16x16x32_i8 v[216:219], a[126:127], v[142:143], v[216:219]// 000000005738: D3D700D8 0F631D7E
	buffer_load_dwordx4 a[60:63], v39, s[12:15], 0 offen       // 000000005740: E05C1000 80833C27
	v_mfma_i32_16x16x32_i8 v[220:223], a[124:125], v[156:157], v[220:223]// 000000005748: D3D700DC 0F73397C
	v_mfma_i32_16x16x32_i8 v[220:223], a[126:127], v[158:159], v[220:223]// 000000005750: D3D700DC 0F733D7E
	s_add_u32 s60, 0x200, s80                                  // 000000005758: 803C50FF 00000200
	s_cmp_lt_u32 s60, s81                                      // 000000005760: BF0A513C
	s_cselect_b32 s56, s56, 0                                  // 000000005764: 85388038
	s_cselect_b32 s78, s78, 0                                  // 000000005768: 854E804E
	s_cselect_b32 s79, s79, 0                                  // 00000000576C: 854F804F
	s_add_u32 s12, s56, s12                                    // 000000005770: 800C0C38
	s_addc_u32 s13, 0, s13                                     // 000000005774: 820D0D80
	s_add_u32 s16, s79, s16                                    // 000000005778: 8010104F
	s_addc_u32 s17, 0, s17                                     // 00000000577C: 82111180
	v_cvt_f32_i32_e32 v192, v192                               // 000000005780: 7F800BC0
	v_cvt_f32_i32_e32 v193, v193                               // 000000005784: 7F820BC1
	v_cvt_f32_i32_e32 v194, v194                               // 000000005788: 7F840BC2
	v_cvt_f32_i32_e32 v195, v195                               // 00000000578C: 7F860BC3
	v_mul_f32_e32 v192, v22, v192                              // 000000005790: 0B818116
	v_mul_f32_e32 v193, v22, v193                              // 000000005794: 0B838316
	v_mul_f32_e32 v194, v22, v194                              // 000000005798: 0B858516
	v_mul_f32_e32 v195, v22, v195                              // 00000000579C: 0B878716
	v_mul_f32_dpp v192, v12, v192 row_newbcast:0 row_mask:0xf bank_mask:0xf// 0000000057A0: 0B8180FA FF01500C
	v_mul_f32_dpp v193, v12, v193 row_newbcast:1 row_mask:0xf bank_mask:0xf// 0000000057A8: 0B8382FA FF01510C
	v_mul_f32_dpp v194, v12, v194 row_newbcast:2 row_mask:0xf bank_mask:0xf// 0000000057B0: 0B8584FA FF01520C
	v_mul_f32_dpp v195, v12, v195 row_newbcast:3 row_mask:0xf bank_mask:0xf// 0000000057B8: 0B8786FA FF01530C
	v_mul_f32_e32 v192, v17, v192                              // 0000000057C0: 0B818111
	v_mul_f32_e32 v193, v17, v193                              // 0000000057C4: 0B838311
	v_mul_f32_e32 v194, v17, v194                              // 0000000057C8: 0B858511
	v_mul_f32_e32 v195, v17, v195                              // 0000000057CC: 0B878711
	v_cvt_f32_i32_e32 v196, v196                               // 0000000057D0: 7F880BC4
	v_cvt_f32_i32_e32 v197, v197                               // 0000000057D4: 7F8A0BC5
	v_cvt_f32_i32_e32 v198, v198                               // 0000000057D8: 7F8C0BC6
	v_cvt_f32_i32_e32 v199, v199                               // 0000000057DC: 7F8E0BC7
	v_mul_f32_e32 v196, v23, v196                              // 0000000057E0: 0B898917
	v_mul_f32_e32 v197, v23, v197                              // 0000000057E4: 0B8B8B17
	v_mul_f32_e32 v198, v23, v198                              // 0000000057E8: 0B8D8D17
	v_mul_f32_e32 v199, v23, v199                              // 0000000057EC: 0B8F8F17
	v_mul_f32_dpp v196, v12, v196 row_newbcast:0 row_mask:0xf bank_mask:0xf// 0000000057F0: 0B8988FA FF01500C
	v_mul_f32_dpp v197, v12, v197 row_newbcast:1 row_mask:0xf bank_mask:0xf// 0000000057F8: 0B8B8AFA FF01510C
	v_mul_f32_dpp v198, v12, v198 row_newbcast:2 row_mask:0xf bank_mask:0xf// 000000005800: 0B8D8CFA FF01520C
	v_mul_f32_dpp v199, v12, v199 row_newbcast:3 row_mask:0xf bank_mask:0xf// 000000005808: 0B8F8EFA FF01530C
	v_mul_f32_e32 v196, v18, v196                              // 000000005810: 0B898912
	v_mul_f32_e32 v197, v18, v197                              // 000000005814: 0B8B8B12
	v_mul_f32_e32 v198, v18, v198                              // 000000005818: 0B8D8D12
	v_mul_f32_e32 v199, v18, v199                              // 00000000581C: 0B8F8F12
	v_cvt_f32_i32_e32 v200, v200                               // 000000005820: 7F900BC8
	v_cvt_f32_i32_e32 v201, v201                               // 000000005824: 7F920BC9
	v_cvt_f32_i32_e32 v202, v202                               // 000000005828: 7F940BCA
	v_cvt_f32_i32_e32 v203, v203                               // 00000000582C: 7F960BCB
	v_mul_f32_e32 v200, v22, v200                              // 000000005830: 0B919116
	v_mul_f32_e32 v201, v22, v201                              // 000000005834: 0B939316
	v_mul_f32_e32 v202, v22, v202                              // 000000005838: 0B959516
	v_mul_f32_e32 v203, v22, v203                              // 00000000583C: 0B979716
	v_mul_f32_dpp v200, v12, v200 row_newbcast:4 row_mask:0xf bank_mask:0xf// 000000005840: 0B9190FA FF01540C
	v_mul_f32_dpp v201, v12, v201 row_newbcast:5 row_mask:0xf bank_mask:0xf// 000000005848: 0B9392FA FF01550C
	v_mul_f32_dpp v202, v12, v202 row_newbcast:6 row_mask:0xf bank_mask:0xf// 000000005850: 0B9594FA FF01560C
	v_mul_f32_dpp v203, v12, v203 row_newbcast:7 row_mask:0xf bank_mask:0xf// 000000005858: 0B9796FA FF01570C
	v_mul_f32_e32 v200, v17, v200                              // 000000005860: 0B919111
	v_mul_f32_e32 v201, v17, v201                              // 000000005864: 0B939311
	v_mul_f32_e32 v202, v17, v202                              // 000000005868: 0B959511
	v_mul_f32_e32 v203, v17, v203                              // 00000000586C: 0B979711
	v_cvt_f32_i32_e32 v204, v204                               // 000000005870: 7F980BCC
	v_cvt_f32_i32_e32 v205, v205                               // 000000005874: 7F9A0BCD
	v_cvt_f32_i32_e32 v206, v206                               // 000000005878: 7F9C0BCE
	v_cvt_f32_i32_e32 v207, v207                               // 00000000587C: 7F9E0BCF
	v_mul_f32_e32 v204, v23, v204                              // 000000005880: 0B999917
	v_mul_f32_e32 v205, v23, v205                              // 000000005884: 0B9B9B17
	v_mul_f32_e32 v206, v23, v206                              // 000000005888: 0B9D9D17
	v_mul_f32_e32 v207, v23, v207                              // 00000000588C: 0B9F9F17
	v_mul_f32_dpp v204, v12, v204 row_newbcast:4 row_mask:0xf bank_mask:0xf// 000000005890: 0B9998FA FF01540C
	v_mul_f32_dpp v205, v12, v205 row_newbcast:5 row_mask:0xf bank_mask:0xf// 000000005898: 0B9B9AFA FF01550C
	v_mul_f32_dpp v206, v12, v206 row_newbcast:6 row_mask:0xf bank_mask:0xf// 0000000058A0: 0B9D9CFA FF01560C
	v_mul_f32_dpp v207, v12, v207 row_newbcast:7 row_mask:0xf bank_mask:0xf// 0000000058A8: 0B9F9EFA FF01570C
	v_mul_f32_e32 v204, v18, v204                              // 0000000058B0: 0B999912
	v_mul_f32_e32 v205, v18, v205                              // 0000000058B4: 0B9B9B12
	v_mul_f32_e32 v206, v18, v206                              // 0000000058B8: 0B9D9D12
	v_mul_f32_e32 v207, v18, v207                              // 0000000058BC: 0B9F9F12
	v_cvt_f32_i32_e32 v208, v208                               // 0000000058C0: 7FA00BD0
	v_cvt_f32_i32_e32 v209, v209                               // 0000000058C4: 7FA20BD1
	v_cvt_f32_i32_e32 v210, v210                               // 0000000058C8: 7FA40BD2
	v_cvt_f32_i32_e32 v211, v211                               // 0000000058CC: 7FA60BD3
	v_mul_f32_e32 v208, v22, v208                              // 0000000058D0: 0BA1A116
	v_mul_f32_e32 v209, v22, v209                              // 0000000058D4: 0BA3A316
	v_mul_f32_e32 v210, v22, v210                              // 0000000058D8: 0BA5A516
	v_mul_f32_e32 v211, v22, v211                              // 0000000058DC: 0BA7A716
	v_mul_f32_dpp v208, v12, v208 row_newbcast:8 row_mask:0xf bank_mask:0xf// 0000000058E0: 0BA1A0FA FF01580C
	v_mul_f32_dpp v209, v12, v209 row_newbcast:9 row_mask:0xf bank_mask:0xf// 0000000058E8: 0BA3A2FA FF01590C
	v_mul_f32_dpp v210, v12, v210 row_newbcast:10 row_mask:0xf bank_mask:0xf// 0000000058F0: 0BA5A4FA FF015A0C
	v_mul_f32_dpp v211, v12, v211 row_newbcast:11 row_mask:0xf bank_mask:0xf// 0000000058F8: 0BA7A6FA FF015B0C
	v_mul_f32_e32 v208, v17, v208                              // 000000005900: 0BA1A111
	v_mul_f32_e32 v209, v17, v209                              // 000000005904: 0BA3A311
	v_mul_f32_e32 v210, v17, v210                              // 000000005908: 0BA5A511
	v_mul_f32_e32 v211, v17, v211                              // 00000000590C: 0BA7A711
	v_cvt_f32_i32_e32 v212, v212                               // 000000005910: 7FA80BD4
	v_cvt_f32_i32_e32 v213, v213                               // 000000005914: 7FAA0BD5
	v_cvt_f32_i32_e32 v214, v214                               // 000000005918: 7FAC0BD6
	v_cvt_f32_i32_e32 v215, v215                               // 00000000591C: 7FAE0BD7
	v_mul_f32_e32 v212, v23, v212                              // 000000005920: 0BA9A917
	v_mul_f32_e32 v213, v23, v213                              // 000000005924: 0BABAB17
	v_mul_f32_e32 v214, v23, v214                              // 000000005928: 0BADAD17
	v_mul_f32_e32 v215, v23, v215                              // 00000000592C: 0BAFAF17
	v_mul_f32_dpp v212, v12, v212 row_newbcast:8 row_mask:0xf bank_mask:0xf// 000000005930: 0BA9A8FA FF01580C
	v_mul_f32_dpp v213, v12, v213 row_newbcast:9 row_mask:0xf bank_mask:0xf// 000000005938: 0BABAAFA FF01590C
	v_mul_f32_dpp v214, v12, v214 row_newbcast:10 row_mask:0xf bank_mask:0xf// 000000005940: 0BADACFA FF015A0C
	v_mul_f32_dpp v215, v12, v215 row_newbcast:11 row_mask:0xf bank_mask:0xf// 000000005948: 0BAFAEFA FF015B0C
	v_mul_f32_e32 v212, v18, v212                              // 000000005950: 0BA9A912
	v_mul_f32_e32 v213, v18, v213                              // 000000005954: 0BABAB12
	v_mul_f32_e32 v214, v18, v214                              // 000000005958: 0BADAD12
	v_mul_f32_e32 v215, v18, v215                              // 00000000595C: 0BAFAF12
	v_cvt_f32_i32_e32 v216, v216                               // 000000005960: 7FB00BD8
	v_cvt_f32_i32_e32 v217, v217                               // 000000005964: 7FB20BD9
	v_cvt_f32_i32_e32 v218, v218                               // 000000005968: 7FB40BDA
	v_cvt_f32_i32_e32 v219, v219                               // 00000000596C: 7FB60BDB
	v_mul_f32_e32 v216, v22, v216                              // 000000005970: 0BB1B116
	v_mul_f32_e32 v217, v22, v217                              // 000000005974: 0BB3B316
	v_mul_f32_e32 v218, v22, v218                              // 000000005978: 0BB5B516
	v_mul_f32_e32 v219, v22, v219                              // 00000000597C: 0BB7B716
	v_mul_f32_dpp v216, v12, v216 row_newbcast:12 row_mask:0xf bank_mask:0xf// 000000005980: 0BB1B0FA FF015C0C
	v_mul_f32_dpp v217, v12, v217 row_newbcast:13 row_mask:0xf bank_mask:0xf// 000000005988: 0BB3B2FA FF015D0C
	v_mul_f32_dpp v218, v12, v218 row_newbcast:14 row_mask:0xf bank_mask:0xf// 000000005990: 0BB5B4FA FF015E0C
	v_mul_f32_dpp v219, v12, v219 row_newbcast:15 row_mask:0xf bank_mask:0xf// 000000005998: 0BB7B6FA FF015F0C
	v_mul_f32_e32 v216, v17, v216                              // 0000000059A0: 0BB1B111
	v_mul_f32_e32 v217, v17, v217                              // 0000000059A4: 0BB3B311
	v_mul_f32_e32 v218, v17, v218                              // 0000000059A8: 0BB5B511
	v_mul_f32_e32 v219, v17, v219                              // 0000000059AC: 0BB7B711
	v_cvt_f32_i32_e32 v220, v220                               // 0000000059B0: 7FB80BDC
	v_cvt_f32_i32_e32 v221, v221                               // 0000000059B4: 7FBA0BDD
	v_cvt_f32_i32_e32 v222, v222                               // 0000000059B8: 7FBC0BDE
	v_cvt_f32_i32_e32 v223, v223                               // 0000000059BC: 7FBE0BDF
	v_mul_f32_e32 v220, v23, v220                              // 0000000059C0: 0BB9B917
	v_mul_f32_e32 v221, v23, v221                              // 0000000059C4: 0BBBBB17
	v_mul_f32_e32 v222, v23, v222                              // 0000000059C8: 0BBDBD17
	v_mul_f32_e32 v223, v23, v223                              // 0000000059CC: 0BBFBF17
	v_mul_f32_dpp v220, v12, v220 row_newbcast:12 row_mask:0xf bank_mask:0xf// 0000000059D0: 0BB9B8FA FF015C0C
	v_mul_f32_dpp v221, v12, v221 row_newbcast:13 row_mask:0xf bank_mask:0xf// 0000000059D8: 0BBBBAFA FF015D0C
	v_mul_f32_dpp v222, v12, v222 row_newbcast:14 row_mask:0xf bank_mask:0xf// 0000000059E0: 0BBDBCFA FF015E0C
	v_mul_f32_dpp v223, v12, v223 row_newbcast:15 row_mask:0xf bank_mask:0xf// 0000000059E8: 0BBFBEFA FF015F0C
	v_mul_f32_e32 v220, v18, v220                              // 0000000059F0: 0BB9B912
	v_mul_f32_e32 v221, v18, v221                              // 0000000059F4: 0BBBBB12
	v_mul_f32_e32 v222, v18, v222                              // 0000000059F8: 0BBDBD12
	v_mul_f32_e32 v223, v18, v223                              // 0000000059FC: 0BBFBF12
	v_cmp_u_f32_e64 s[48:49], v192, v192                       // 000000005A00: D0480030 000381C0
	v_add3_u32 v40, v192, v43, 1                               // 000000005A08: D1FF0028 020657C0
	v_cndmask_b32_e64 v44, v40, v42, s[48:49]                  // 000000005A10: D100002C 00C25528
	v_cmp_u_f32_e64 s[48:49], v193, v193                       // 000000005A18: D0480030 000383C1
	v_add3_u32 v40, v193, v43, 1                               // 000000005A20: D1FF0028 020657C1
	v_cndmask_b32_e64 v45, v40, v42, s[48:49]                  // 000000005A28: D100002D 00C25528
	v_perm_b32 v192, v45, v44, s52                             // 000000005A30: D1ED00C0 00D2592D
	v_cmp_u_f32_e64 s[48:49], v194, v194                       // 000000005A38: D0480030 000385C2
	v_add3_u32 v40, v194, v43, 1                               // 000000005A40: D1FF0028 020657C2
	v_cndmask_b32_e64 v44, v40, v42, s[48:49]                  // 000000005A48: D100002C 00C25528
	v_cmp_u_f32_e64 s[48:49], v195, v195                       // 000000005A50: D0480030 000387C3
	v_add3_u32 v40, v195, v43, 1                               // 000000005A58: D1FF0028 020657C3
	v_cndmask_b32_e64 v45, v40, v42, s[48:49]                  // 000000005A60: D100002D 00C25528
	v_perm_b32 v193, v45, v44, s52                             // 000000005A68: D1ED00C1 00D2592D
	v_cmp_u_f32_e64 s[48:49], v196, v196                       // 000000005A70: D0480030 000389C4
	v_add3_u32 v40, v196, v43, 1                               // 000000005A78: D1FF0028 020657C4
	v_cndmask_b32_e64 v44, v40, v42, s[48:49]                  // 000000005A80: D100002C 00C25528
	v_cmp_u_f32_e64 s[48:49], v197, v197                       // 000000005A88: D0480030 00038BC5
	v_add3_u32 v40, v197, v43, 1                               // 000000005A90: D1FF0028 020657C5
	v_cndmask_b32_e64 v45, v40, v42, s[48:49]                  // 000000005A98: D100002D 00C25528
	v_perm_b32 v194, v45, v44, s52                             // 000000005AA0: D1ED00C2 00D2592D
	v_cmp_u_f32_e64 s[48:49], v198, v198                       // 000000005AA8: D0480030 00038DC6
	v_add3_u32 v40, v198, v43, 1                               // 000000005AB0: D1FF0028 020657C6
	v_cndmask_b32_e64 v44, v40, v42, s[48:49]                  // 000000005AB8: D100002C 00C25528
	v_cmp_u_f32_e64 s[48:49], v199, v199                       // 000000005AC0: D0480030 00038FC7
	v_add3_u32 v40, v199, v43, 1                               // 000000005AC8: D1FF0028 020657C7
	v_cndmask_b32_e64 v45, v40, v42, s[48:49]                  // 000000005AD0: D100002D 00C25528
	v_perm_b32 v195, v45, v44, s52                             // 000000005AD8: D1ED00C3 00D2592D
	v_cmp_u_f32_e64 s[48:49], v200, v200                       // 000000005AE0: D0480030 000391C8
	v_add3_u32 v40, v200, v43, 1                               // 000000005AE8: D1FF0028 020657C8
	v_cndmask_b32_e64 v44, v40, v42, s[48:49]                  // 000000005AF0: D100002C 00C25528
	v_cmp_u_f32_e64 s[48:49], v201, v201                       // 000000005AF8: D0480030 000393C9
	v_add3_u32 v40, v201, v43, 1                               // 000000005B00: D1FF0028 020657C9
	v_cndmask_b32_e64 v45, v40, v42, s[48:49]                  // 000000005B08: D100002D 00C25528
	v_perm_b32 v196, v45, v44, s52                             // 000000005B10: D1ED00C4 00D2592D
	v_cmp_u_f32_e64 s[48:49], v202, v202                       // 000000005B18: D0480030 000395CA
	v_add3_u32 v40, v202, v43, 1                               // 000000005B20: D1FF0028 020657CA
	v_cndmask_b32_e64 v44, v40, v42, s[48:49]                  // 000000005B28: D100002C 00C25528
	v_cmp_u_f32_e64 s[48:49], v203, v203                       // 000000005B30: D0480030 000397CB
	v_add3_u32 v40, v203, v43, 1                               // 000000005B38: D1FF0028 020657CB
	v_cndmask_b32_e64 v45, v40, v42, s[48:49]                  // 000000005B40: D100002D 00C25528
	v_perm_b32 v197, v45, v44, s52                             // 000000005B48: D1ED00C5 00D2592D
	v_cmp_u_f32_e64 s[48:49], v204, v204                       // 000000005B50: D0480030 000399CC
	v_add3_u32 v40, v204, v43, 1                               // 000000005B58: D1FF0028 020657CC
	v_cndmask_b32_e64 v44, v40, v42, s[48:49]                  // 000000005B60: D100002C 00C25528
	v_cmp_u_f32_e64 s[48:49], v205, v205                       // 000000005B68: D0480030 00039BCD
	v_add3_u32 v40, v205, v43, 1                               // 000000005B70: D1FF0028 020657CD
	v_cndmask_b32_e64 v45, v40, v42, s[48:49]                  // 000000005B78: D100002D 00C25528
	v_perm_b32 v198, v45, v44, s52                             // 000000005B80: D1ED00C6 00D2592D
	v_cmp_u_f32_e64 s[48:49], v206, v206                       // 000000005B88: D0480030 00039DCE
	v_add3_u32 v40, v206, v43, 1                               // 000000005B90: D1FF0028 020657CE
	v_cndmask_b32_e64 v44, v40, v42, s[48:49]                  // 000000005B98: D100002C 00C25528
	v_cmp_u_f32_e64 s[48:49], v207, v207                       // 000000005BA0: D0480030 00039FCF
	v_add3_u32 v40, v207, v43, 1                               // 000000005BA8: D1FF0028 020657CF
	v_cndmask_b32_e64 v45, v40, v42, s[48:49]                  // 000000005BB0: D100002D 00C25528
	v_perm_b32 v199, v45, v44, s52                             // 000000005BB8: D1ED00C7 00D2592D
	v_cmp_u_f32_e64 s[48:49], v208, v208                       // 000000005BC0: D0480030 0003A1D0
	v_add3_u32 v40, v208, v43, 1                               // 000000005BC8: D1FF0028 020657D0
	v_cndmask_b32_e64 v44, v40, v42, s[48:49]                  // 000000005BD0: D100002C 00C25528
	v_cmp_u_f32_e64 s[48:49], v209, v209                       // 000000005BD8: D0480030 0003A3D1
	v_add3_u32 v40, v209, v43, 1                               // 000000005BE0: D1FF0028 020657D1
	v_cndmask_b32_e64 v45, v40, v42, s[48:49]                  // 000000005BE8: D100002D 00C25528
	v_perm_b32 v200, v45, v44, s52                             // 000000005BF0: D1ED00C8 00D2592D
	v_cmp_u_f32_e64 s[48:49], v210, v210                       // 000000005BF8: D0480030 0003A5D2
	v_add3_u32 v40, v210, v43, 1                               // 000000005C00: D1FF0028 020657D2
	v_cndmask_b32_e64 v44, v40, v42, s[48:49]                  // 000000005C08: D100002C 00C25528
	v_cmp_u_f32_e64 s[48:49], v211, v211                       // 000000005C10: D0480030 0003A7D3
	v_add3_u32 v40, v211, v43, 1                               // 000000005C18: D1FF0028 020657D3
	v_cndmask_b32_e64 v45, v40, v42, s[48:49]                  // 000000005C20: D100002D 00C25528
	v_perm_b32 v201, v45, v44, s52                             // 000000005C28: D1ED00C9 00D2592D
	v_cmp_u_f32_e64 s[48:49], v212, v212                       // 000000005C30: D0480030 0003A9D4
	v_add3_u32 v40, v212, v43, 1                               // 000000005C38: D1FF0028 020657D4
	v_cndmask_b32_e64 v44, v40, v42, s[48:49]                  // 000000005C40: D100002C 00C25528
	v_cmp_u_f32_e64 s[48:49], v213, v213                       // 000000005C48: D0480030 0003ABD5
	v_add3_u32 v40, v213, v43, 1                               // 000000005C50: D1FF0028 020657D5
	v_cndmask_b32_e64 v45, v40, v42, s[48:49]                  // 000000005C58: D100002D 00C25528
	v_perm_b32 v202, v45, v44, s52                             // 000000005C60: D1ED00CA 00D2592D
	v_cmp_u_f32_e64 s[48:49], v214, v214                       // 000000005C68: D0480030 0003ADD6
	v_add3_u32 v40, v214, v43, 1                               // 000000005C70: D1FF0028 020657D6
	v_cndmask_b32_e64 v44, v40, v42, s[48:49]                  // 000000005C78: D100002C 00C25528
	v_cmp_u_f32_e64 s[48:49], v215, v215                       // 000000005C80: D0480030 0003AFD7
	v_add3_u32 v40, v215, v43, 1                               // 000000005C88: D1FF0028 020657D7
	v_cndmask_b32_e64 v45, v40, v42, s[48:49]                  // 000000005C90: D100002D 00C25528
	v_perm_b32 v203, v45, v44, s52                             // 000000005C98: D1ED00CB 00D2592D
	v_cmp_u_f32_e64 s[48:49], v216, v216                       // 000000005CA0: D0480030 0003B1D8
	v_add3_u32 v40, v216, v43, 1                               // 000000005CA8: D1FF0028 020657D8
	v_cndmask_b32_e64 v44, v40, v42, s[48:49]                  // 000000005CB0: D100002C 00C25528
	v_cmp_u_f32_e64 s[48:49], v217, v217                       // 000000005CB8: D0480030 0003B3D9
	v_add3_u32 v40, v217, v43, 1                               // 000000005CC0: D1FF0028 020657D9
	v_cndmask_b32_e64 v45, v40, v42, s[48:49]                  // 000000005CC8: D100002D 00C25528
	v_perm_b32 v204, v45, v44, s52                             // 000000005CD0: D1ED00CC 00D2592D
	v_cmp_u_f32_e64 s[48:49], v218, v218                       // 000000005CD8: D0480030 0003B5DA
	v_add3_u32 v40, v218, v43, 1                               // 000000005CE0: D1FF0028 020657DA
	v_cndmask_b32_e64 v44, v40, v42, s[48:49]                  // 000000005CE8: D100002C 00C25528
	v_cmp_u_f32_e64 s[48:49], v219, v219                       // 000000005CF0: D0480030 0003B7DB
	v_add3_u32 v40, v219, v43, 1                               // 000000005CF8: D1FF0028 020657DB
	v_cndmask_b32_e64 v45, v40, v42, s[48:49]                  // 000000005D00: D100002D 00C25528
	v_perm_b32 v205, v45, v44, s52                             // 000000005D08: D1ED00CD 00D2592D
	v_cmp_u_f32_e64 s[48:49], v220, v220                       // 000000005D10: D0480030 0003B9DC
	v_add3_u32 v40, v220, v43, 1                               // 000000005D18: D1FF0028 020657DC
	v_cndmask_b32_e64 v44, v40, v42, s[48:49]                  // 000000005D20: D100002C 00C25528
	v_cmp_u_f32_e64 s[48:49], v221, v221                       // 000000005D28: D0480030 0003BBDD
	v_add3_u32 v40, v221, v43, 1                               // 000000005D30: D1FF0028 020657DD
	v_cndmask_b32_e64 v45, v40, v42, s[48:49]                  // 000000005D38: D100002D 00C25528
	v_perm_b32 v206, v45, v44, s52                             // 000000005D40: D1ED00CE 00D2592D
	v_cmp_u_f32_e64 s[48:49], v222, v222                       // 000000005D48: D0480030 0003BDDE
	v_add3_u32 v40, v222, v43, 1                               // 000000005D50: D1FF0028 020657DE
	v_cndmask_b32_e64 v44, v40, v42, s[48:49]                  // 000000005D58: D100002C 00C25528
	v_cmp_u_f32_e64 s[48:49], v223, v223                       // 000000005D60: D0480030 0003BFDF
	v_add3_u32 v40, v223, v43, 1                               // 000000005D68: D1FF0028 020657DF
	v_cndmask_b32_e64 v45, v40, v42, s[48:49]                  // 000000005D70: D100002D 00C25528
	v_perm_b32 v207, v45, v44, s52                             // 000000005D78: D1ED00CF 00D2592D
	ds_write_b64 v3, v[192:193] offset:26880                   // 000000005D80: D89A6900 0000C003
	ds_write_b64 v3, v[194:195] offset:35584                   // 000000005D88: D89A8B00 0000C203
	ds_write_b64 v3, v[196:197] offset:29056                   // 000000005D90: D89A7180 0000C403
	ds_write_b64 v3, v[198:199] offset:37760                   // 000000005D98: D89A9380 0000C603
	ds_write_b64 v3, v[200:201] offset:31232                   // 000000005DA0: D89A7A00 0000C803
	ds_write_b64 v3, v[202:203] offset:39936                   // 000000005DA8: D89A9C00 0000CA03
	ds_write_b64 v3, v[204:205] offset:33408                   // 000000005DB0: D89A8280 0000CC03
	ds_write_b64 v3, v[206:207] offset:42112                   // 000000005DB8: D89AA480 0000CE03
	s_waitcnt lgkmcnt(0)                                       // 000000005DC0: BF8CC07F
	s_barrier                                                  // 000000005DC4: BF8A0000
	ds_read_b32 v64, v4 offset:26880                           // 000000005DC8: D86C6900 40000004
	ds_read_b32 v65, v4 offset:31232                           // 000000005DD0: D86C7A00 41000004
	ds_read_b32 v66, v4 offset:26912                           // 000000005DD8: D86C6920 42000004
	ds_read_b32 v67, v4 offset:31264                           // 000000005DE0: D86C7A20 43000004
	ds_read_b32 v68, v4 offset:26944                           // 000000005DE8: D86C6940 44000004
	ds_read_b32 v69, v4 offset:31296                           // 000000005DF0: D86C7A40 45000004
	ds_read_b32 v70, v4 offset:26976                           // 000000005DF8: D86C6960 46000004
	ds_read_b32 v71, v4 offset:31328                           // 000000005E00: D86C7A60 47000004
	ds_read_b32 v72, v4 offset:35584                           // 000000005E08: D86C8B00 48000004
	ds_read_b32 v73, v4 offset:39936                           // 000000005E10: D86C9C00 49000004
	ds_read_b32 v74, v4 offset:35616                           // 000000005E18: D86C8B20 4A000004
	ds_read_b32 v75, v4 offset:39968                           // 000000005E20: D86C9C20 4B000004
	ds_read_b32 v76, v4 offset:35648                           // 000000005E28: D86C8B40 4C000004
	ds_read_b32 v77, v4 offset:40000                           // 000000005E30: D86C9C40 4D000004
	ds_read_b32 v78, v4 offset:35680                           // 000000005E38: D86C8B60 4E000004
	ds_read_b32 v79, v4 offset:40032                           // 000000005E40: D86C9C60 4F000004
	s_waitcnt lgkmcnt(0)                                       // 000000005E48: BF8CC07F
	s_mov_b64 exec, s[20:21]                                   // 000000005E4C: BEFE0114
	global_atomic_pk_add_bf16 v80, v64, s[8:9]                 // 000000005E50: DD488000 00084050
	s_mov_b64 exec, s[36:37]                                   // 000000005E58: BEFE0124
	s_mov_b64 exec, s[20:21]                                   // 000000005E5C: BEFE0114
	global_atomic_pk_add_bf16 v80, v65, s[8:9] offset:256      // 000000005E60: DD488100 00084150
	s_mov_b64 exec, s[36:37]                                   // 000000005E68: BEFE0124
	s_mov_b64 exec, s[22:23]                                   // 000000005E6C: BEFE0116
	global_atomic_pk_add_bf16 v82, v66, s[8:9]                 // 000000005E70: DD488000 00084252
	s_mov_b64 exec, s[36:37]                                   // 000000005E78: BEFE0124
	s_mov_b64 exec, s[22:23]                                   // 000000005E7C: BEFE0116
	global_atomic_pk_add_bf16 v82, v67, s[8:9] offset:256      // 000000005E80: DD488100 00084352
	s_mov_b64 exec, s[36:37]                                   // 000000005E88: BEFE0124
	s_mov_b64 exec, s[24:25]                                   // 000000005E8C: BEFE0118
	global_atomic_pk_add_bf16 v84, v68, s[8:9]                 // 000000005E90: DD488000 00084454
	s_mov_b64 exec, s[36:37]                                   // 000000005E98: BEFE0124
	s_mov_b64 exec, s[24:25]                                   // 000000005E9C: BEFE0118
	global_atomic_pk_add_bf16 v84, v69, s[8:9] offset:256      // 000000005EA0: DD488100 00084554
	s_mov_b64 exec, s[36:37]                                   // 000000005EA8: BEFE0124
	s_mov_b64 exec, s[26:27]                                   // 000000005EAC: BEFE011A
	global_atomic_pk_add_bf16 v86, v70, s[8:9]                 // 000000005EB0: DD488000 00084656
	s_mov_b64 exec, s[36:37]                                   // 000000005EB8: BEFE0124
	s_mov_b64 exec, s[26:27]                                   // 000000005EBC: BEFE011A
	global_atomic_pk_add_bf16 v86, v71, s[8:9] offset:256      // 000000005EC0: DD488100 00084756
	s_mov_b64 exec, s[36:37]                                   // 000000005EC8: BEFE0124
	s_mov_b64 exec, s[28:29]                                   // 000000005ECC: BEFE011C
	global_atomic_pk_add_bf16 v88, v72, s[8:9]                 // 000000005ED0: DD488000 00084858
	s_mov_b64 exec, s[36:37]                                   // 000000005ED8: BEFE0124
	s_mov_b64 exec, s[28:29]                                   // 000000005EDC: BEFE011C
	global_atomic_pk_add_bf16 v88, v73, s[8:9] offset:256      // 000000005EE0: DD488100 00084958
	s_mov_b64 exec, s[36:37]                                   // 000000005EE8: BEFE0124
	s_mov_b64 exec, s[30:31]                                   // 000000005EEC: BEFE011E
	global_atomic_pk_add_bf16 v90, v74, s[8:9]                 // 000000005EF0: DD488000 00084A5A
	s_mov_b64 exec, s[36:37]                                   // 000000005EF8: BEFE0124
	s_mov_b64 exec, s[30:31]                                   // 000000005EFC: BEFE011E
	global_atomic_pk_add_bf16 v90, v75, s[8:9] offset:256      // 000000005F00: DD488100 00084B5A
	s_mov_b64 exec, s[36:37]                                   // 000000005F08: BEFE0124
	s_mov_b64 exec, s[32:33]                                   // 000000005F0C: BEFE0120
	global_atomic_pk_add_bf16 v92, v76, s[8:9]                 // 000000005F10: DD488000 00084C5C
	s_mov_b64 exec, s[36:37]                                   // 000000005F18: BEFE0124
	s_mov_b64 exec, s[32:33]                                   // 000000005F1C: BEFE0120
	global_atomic_pk_add_bf16 v92, v77, s[8:9] offset:256      // 000000005F20: DD488100 00084D5C
	s_mov_b64 exec, s[36:37]                                   // 000000005F28: BEFE0124
	s_mov_b64 exec, s[34:35]                                   // 000000005F2C: BEFE0122
	global_atomic_pk_add_bf16 v94, v78, s[8:9]                 // 000000005F30: DD488000 00084E5E
	s_mov_b64 exec, s[36:37]                                   // 000000005F38: BEFE0124
	s_mov_b64 exec, s[34:35]                                   // 000000005F3C: BEFE0122
	global_atomic_pk_add_bf16 v94, v79, s[8:9] offset:256      // 000000005F40: DD488100 00084F5E
	s_mov_b64 exec, s[36:37]                                   // 000000005F48: BEFE0124
	s_add_u32 s8, s59, s8                                      // 000000005F4C: 8008083B
	s_addc_u32 s9, 0, s9                                       // 000000005F50: 82090980
	s_addk_i32 s80, 0x100                                      // 000000005F54: B7500100
	s_cmp_lt_i32 s80, s81                                      // 000000005F58: BF045150
	s_cbranch_scc0 label_0D19                                  // 000000005F5C: BF840001
	s_branch label_07BA                                        // 000000005F60: BF82FAA1

0000000000005f64 <label_0D19>:
	s_nop 0                                                    // 000000005F64: BF800000
	s_nop 0                                                    // 000000005F68: BF800000
	s_branch label_17D1                                        // 000000005F6C: BF820AB5

0000000000005f70 <label_0D1C>:
	s_waitcnt vmcnt(8) lgkmcnt(0)                              // 000000005F70: BF8C0078
	s_barrier                                                  // 000000005F74: BF8A0000
	v_mfma_i32_16x16x32_i8 v[128:131], a[0:1], v[160:161], v[128:131]// 000000005F78: D3D70080 0E034100
	buffer_load_dwordx4 a[64:67], v32, s[24:27], 0 offen       // 000000005F80: E05C1000 80864020
	v_mfma_i32_16x16x32_i8 v[128:131], a[2:3], v[162:163], v[128:131]// 000000005F88: D3D70080 0E034502
	v_mfma_i32_16x16x32_i8 v[128:131], a[4:5], v[164:165], v[128:131]// 000000005F90: D3D70080 0E034904
	buffer_load_dword v24, s[20:23], 0 offen lds               // 000000005F98: E0511000 80050018
	s_add_u32 m0, 0x100, s50                                   // 000000005FA0: 807C32FF 00000100
	v_mfma_i32_16x16x32_i8 v[128:131], a[6:7], v[166:167], v[128:131]// 000000005FA8: D3D70080 0E034D06
	v_mfma_i32_16x16x32_i8 v[128:131], a[8:9], v[168:169], v[128:131]// 000000005FB0: D3D70080 0E035108
	buffer_load_dwordx4 a[68:71], v32, s[24:27], 0 offen offset:1024// 000000005FB8: E05C1400 80864420
	v_mfma_i32_16x16x32_i8 v[128:131], a[10:11], v[170:171], v[128:131]// 000000005FC0: D3D70080 0E03550A
	v_mfma_i32_16x16x32_i8 v[128:131], a[12:13], v[172:173], v[128:131]// 000000005FC8: D3D70080 0E03590C
	buffer_load_dword v25, s[20:23], 0 offen lds               // 000000005FD0: E0511000 80050019
	s_add_u32 m0, 0x200, s50                                   // 000000005FD8: 807C32FF 00000200
	v_mfma_i32_16x16x32_i8 v[128:131], a[14:15], v[174:175], v[128:131]// 000000005FE0: D3D70080 0E035D0E
	v_mfma_i32_16x16x32_i8 v[132:135], a[0:1], v[176:177], v[132:135]// 000000005FE8: D3D70084 0E136100
	buffer_load_dwordx4 a[72:75], v32, s[24:27], 0 offen offset:2048// 000000005FF0: E05C1800 80864820
	v_mfma_i32_16x16x32_i8 v[132:135], a[2:3], v[178:179], v[132:135]// 000000005FF8: D3D70084 0E136502
	v_mfma_i32_16x16x32_i8 v[132:135], a[4:5], v[180:181], v[132:135]// 000000006000: D3D70084 0E136904
	buffer_load_dword v26, s[20:23], 0 offen lds               // 000000006008: E0511000 8005001A
	s_add_u32 m0, 0x300, s50                                   // 000000006010: 807C32FF 00000300
	v_mfma_i32_16x16x32_i8 v[132:135], a[6:7], v[182:183], v[132:135]// 000000006018: D3D70084 0E136D06
	v_mfma_i32_16x16x32_i8 v[132:135], a[8:9], v[184:185], v[132:135]// 000000006020: D3D70084 0E137108
	buffer_load_dwordx4 a[76:79], v32, s[24:27], 0 offen offset:3072// 000000006028: E05C1C00 80864C20
	v_mfma_i32_16x16x32_i8 v[132:135], a[10:11], v[186:187], v[132:135]// 000000006030: D3D70084 0E13750A
	v_mfma_i32_16x16x32_i8 v[132:135], a[12:13], v[188:189], v[132:135]// 000000006038: D3D70084 0E13790C
	buffer_load_dword v27, s[20:23], 0 offen lds               // 000000006040: E0511000 8005001B
	s_add_u32 m0, 0x400, s50                                   // 000000006048: 807C32FF 00000400
	v_mfma_i32_16x16x32_i8 v[132:135], a[14:15], v[190:191], v[132:135]// 000000006050: D3D70084 0E137D0E
	v_mfma_i32_16x16x32_i8 v[136:139], a[16:17], v[160:161], v[136:139]// 000000006058: D3D70088 0E234110
	buffer_load_dwordx4 a[80:83], v33, s[24:27], 0 offen       // 000000006060: E05C1000 80865021
	v_mfma_i32_16x16x32_i8 v[136:139], a[18:19], v[162:163], v[136:139]// 000000006068: D3D70088 0E234512
	v_mfma_i32_16x16x32_i8 v[136:139], a[20:21], v[164:165], v[136:139]// 000000006070: D3D70088 0E234914
	buffer_load_dword v28, s[20:23], 0 offen lds               // 000000006078: E0511000 8005001C
	s_add_u32 m0, 0x500, s50                                   // 000000006080: 807C32FF 00000500
	v_mfma_i32_16x16x32_i8 v[136:139], a[22:23], v[166:167], v[136:139]// 000000006088: D3D70088 0E234D16
	v_mfma_i32_16x16x32_i8 v[136:139], a[24:25], v[168:169], v[136:139]// 000000006090: D3D70088 0E235118
	buffer_load_dwordx4 a[84:87], v33, s[24:27], 0 offen offset:1024// 000000006098: E05C1400 80865421
	v_mfma_i32_16x16x32_i8 v[136:139], a[26:27], v[170:171], v[136:139]// 0000000060A0: D3D70088 0E23551A
	v_mfma_i32_16x16x32_i8 v[136:139], a[28:29], v[172:173], v[136:139]// 0000000060A8: D3D70088 0E23591C
	buffer_load_dword v29, s[20:23], 0 offen lds               // 0000000060B0: E0511000 8005001D
	s_add_u32 m0, 0x600, s50                                   // 0000000060B8: 807C32FF 00000600
	v_mfma_i32_16x16x32_i8 v[136:139], a[30:31], v[174:175], v[136:139]// 0000000060C0: D3D70088 0E235D1E
	v_mfma_i32_16x16x32_i8 v[140:143], a[16:17], v[176:177], v[140:143]// 0000000060C8: D3D7008C 0E336110
	buffer_load_dwordx4 a[88:91], v33, s[24:27], 0 offen offset:2048// 0000000060D0: E05C1800 80865821
	v_mfma_i32_16x16x32_i8 v[140:143], a[18:19], v[178:179], v[140:143]// 0000000060D8: D3D7008C 0E336512
	v_mfma_i32_16x16x32_i8 v[140:143], a[20:21], v[180:181], v[140:143]// 0000000060E0: D3D7008C 0E336914
	buffer_load_dword v30, s[20:23], 0 offen lds               // 0000000060E8: E0511000 8005001E
	s_add_u32 m0, 0x700, s50                                   // 0000000060F0: 807C32FF 00000700
	v_mfma_i32_16x16x32_i8 v[140:143], a[22:23], v[182:183], v[140:143]// 0000000060F8: D3D7008C 0E336D16
	v_mfma_i32_16x16x32_i8 v[140:143], a[24:25], v[184:185], v[140:143]// 000000006100: D3D7008C 0E337118
	buffer_load_dwordx4 a[92:95], v33, s[24:27], 0 offen offset:3072// 000000006108: E05C1C00 80865C21
	v_mfma_i32_16x16x32_i8 v[140:143], a[26:27], v[186:187], v[140:143]// 000000006110: D3D7008C 0E33751A
	v_mfma_i32_16x16x32_i8 v[140:143], a[28:29], v[188:189], v[140:143]// 000000006118: D3D7008C 0E33791C
	buffer_load_dword v31, s[20:23], 0 offen lds               // 000000006120: E0511000 8005001F
	s_add_u32 m0, 0, s51                                       // 000000006128: 807C3380
	v_mfma_i32_16x16x32_i8 v[140:143], a[30:31], v[190:191], v[140:143]// 00000000612C: D3D7008C 0E337D1E
	s_waitcnt vmcnt(20)                                        // 000000006134: BF8C4F74
	v_mfma_i32_16x16x32_i8 v[144:147], a[32:33], v[160:161], v[144:147]// 000000006138: D3D70090 0E434120
	buffer_load_dwordx4 a[96:99], v34, s[24:27], 0 offen       // 000000006140: E05C1000 80866022
	v_mfma_i32_16x16x32_i8 v[144:147], a[34:35], v[162:163], v[144:147]// 000000006148: D3D70090 0E434522
	v_mfma_i32_16x16x32_i8 v[144:147], a[36:37], v[164:165], v[144:147]// 000000006150: D3D70090 0E434924
	ds_read_b128 v[192:195], v2 offset:8320                    // 000000006158: D9FE2080 C0000002
	v_mfma_i32_16x16x32_i8 v[144:147], a[38:39], v[166:167], v[144:147]// 000000006160: D3D70090 0E434D26
	v_mfma_i32_16x16x32_i8 v[144:147], a[40:41], v[168:169], v[144:147]// 000000006168: D3D70090 0E435128
	buffer_load_dwordx4 a[100:103], v34, s[24:27], 0 offen offset:1024// 000000006170: E05C1400 80866422
	v_mfma_i32_16x16x32_i8 v[144:147], a[42:43], v[170:171], v[144:147]// 000000006178: D3D70090 0E43552A
	v_mfma_i32_16x16x32_i8 v[144:147], a[44:45], v[172:173], v[144:147]// 000000006180: D3D70090 0E43592C
	ds_read_b128 v[196:199], v2 offset:8384                    // 000000006188: D9FE20C0 C4000002
	v_mfma_i32_16x16x32_i8 v[144:147], a[46:47], v[174:175], v[144:147]// 000000006190: D3D70090 0E435D2E
	v_mfma_i32_16x16x32_i8 v[148:151], a[32:33], v[176:177], v[148:151]// 000000006198: D3D70094 0E536120
	buffer_load_dwordx4 a[104:107], v34, s[24:27], 0 offen offset:2048// 0000000061A0: E05C1800 80866822
	v_mfma_i32_16x16x32_i8 v[148:151], a[34:35], v[178:179], v[148:151]// 0000000061A8: D3D70094 0E536522
	v_mfma_i32_16x16x32_i8 v[148:151], a[36:37], v[180:181], v[148:151]// 0000000061B0: D3D70094 0E536924
	ds_read_b128 v[200:203], v2 offset:8448                    // 0000000061B8: D9FE2100 C8000002
	v_mfma_i32_16x16x32_i8 v[148:151], a[38:39], v[182:183], v[148:151]// 0000000061C0: D3D70094 0E536D26
	v_mfma_i32_16x16x32_i8 v[148:151], a[40:41], v[184:185], v[148:151]// 0000000061C8: D3D70094 0E537128
	buffer_load_dwordx4 a[108:111], v34, s[24:27], 0 offen offset:3072// 0000000061D0: E05C1C00 80866C22
	v_mfma_i32_16x16x32_i8 v[148:151], a[42:43], v[186:187], v[148:151]// 0000000061D8: D3D70094 0E53752A
	v_mfma_i32_16x16x32_i8 v[148:151], a[44:45], v[188:189], v[148:151]// 0000000061E0: D3D70094 0E53792C
	ds_read_b128 v[204:207], v2 offset:8512                    // 0000000061E8: D9FE2140 CC000002
	v_mfma_i32_16x16x32_i8 v[148:151], a[46:47], v[190:191], v[148:151]// 0000000061F0: D3D70094 0E537D2E
	s_waitcnt vmcnt(20)                                        // 0000000061F8: BF8C4F74
	v_mfma_i32_16x16x32_i8 v[152:155], a[48:49], v[160:161], v[152:155]// 0000000061FC: D3D70098 0E634130
	buffer_load_dwordx4 a[112:115], v35, s[24:27], 0 offen     // 000000006204: E05C1000 80867023
	v_mfma_i32_16x16x32_i8 v[152:155], a[50:51], v[162:163], v[152:155]// 00000000620C: D3D70098 0E634532
	v_mfma_i32_16x16x32_i8 v[152:155], a[52:53], v[164:165], v[152:155]// 000000006214: D3D70098 0E634934
	ds_read_b128 v[208:211], v2 offset:9344                    // 00000000621C: D9FE2480 D0000002
	v_mfma_i32_16x16x32_i8 v[152:155], a[54:55], v[166:167], v[152:155]// 000000006224: D3D70098 0E634D36
	v_mfma_i32_16x16x32_i8 v[152:155], a[56:57], v[168:169], v[152:155]// 00000000622C: D3D70098 0E635138
	buffer_load_dwordx4 a[116:119], v35, s[24:27], 0 offen offset:1024// 000000006234: E05C1400 80867423
	v_mfma_i32_16x16x32_i8 v[152:155], a[58:59], v[170:171], v[152:155]// 00000000623C: D3D70098 0E63553A
	v_mfma_i32_16x16x32_i8 v[152:155], a[60:61], v[172:173], v[152:155]// 000000006244: D3D70098 0E63593C
	ds_read_b128 v[212:215], v2 offset:9408                    // 00000000624C: D9FE24C0 D4000002
	v_mfma_i32_16x16x32_i8 v[152:155], a[62:63], v[174:175], v[152:155]// 000000006254: D3D70098 0E635D3E
	v_mfma_i32_16x16x32_i8 v[156:159], a[48:49], v[176:177], v[156:159]// 00000000625C: D3D7009C 0E736130
	buffer_load_dwordx4 a[120:123], v35, s[24:27], 0 offen offset:2048// 000000006264: E05C1800 80867823
	v_mfma_i32_16x16x32_i8 v[156:159], a[50:51], v[178:179], v[156:159]// 00000000626C: D3D7009C 0E736532
	v_mfma_i32_16x16x32_i8 v[156:159], a[52:53], v[180:181], v[156:159]// 000000006274: D3D7009C 0E736934
	ds_read_b128 v[216:219], v2 offset:9472                    // 00000000627C: D9FE2500 D8000002
	v_mfma_i32_16x16x32_i8 v[156:159], a[54:55], v[182:183], v[156:159]// 000000006284: D3D7009C 0E736D36
	v_mfma_i32_16x16x32_i8 v[156:159], a[56:57], v[184:185], v[156:159]// 00000000628C: D3D7009C 0E737138
	buffer_load_dwordx4 a[124:127], v35, s[24:27], 0 offen offset:3072// 000000006294: E05C1C00 80867C23
	v_mfma_i32_16x16x32_i8 v[156:159], a[58:59], v[186:187], v[156:159]// 00000000629C: D3D7009C 0E73753A
	v_mfma_i32_16x16x32_i8 v[156:159], a[60:61], v[188:189], v[156:159]// 0000000062A4: D3D7009C 0E73793C
	ds_read_b128 v[220:223], v2 offset:9536                    // 0000000062AC: D9FE2540 DC000002
	v_mfma_i32_16x16x32_i8 v[156:159], a[62:63], v[190:191], v[156:159]// 0000000062B4: D3D7009C 0E737D3E
	s_add_u32 s60, 0x300, s80                                  // 0000000062BC: 803C50FF 00000300
	s_cmp_lt_u32 s60, s81                                      // 0000000062C4: BF0A513C
	s_cselect_b32 s57, s57, 0                                  // 0000000062C8: 85398039
	s_add_u32 s60, 0x200, s80                                  // 0000000062CC: 803C50FF 00000200
	s_cmp_lt_u32 s60, s81                                      // 0000000062D4: BF0A513C
	s_cselect_b32 s58, s58, 0                                  // 0000000062D8: 853A803A
	s_add_u32 s20, s57, s20                                    // 0000000062DC: 80141439
	s_addc_u32 s21, 0, s21                                     // 0000000062E0: 82151580
	s_add_u32 s24, s58, s24                                    // 0000000062E4: 8018183A
	s_addc_u32 s25, 0, s25                                     // 0000000062E8: 82191980
	s_addk_i32 s80, 0x100                                      // 0000000062EC: B7500100
	s_cmp_lt_i32 s80, s81                                      // 0000000062F0: BF045150
	s_cbranch_scc0 label_0EE1                                  // 0000000062F4: BF8400E3
	s_waitcnt vmcnt(8) lgkmcnt(0)                              // 0000000062F8: BF8C0078
	s_barrier                                                  // 0000000062FC: BF8A0000
	v_mfma_i32_16x16x32_i8 v[128:131], a[64:65], v[192:193], v[128:131]// 000000006300: D3D70080 0E038140
	buffer_load_dwordx4 a[0:3], v32, s[24:27], 0 offen         // 000000006308: E05C1000 80860020
	v_mfma_i32_16x16x32_i8 v[128:131], a[66:67], v[194:195], v[128:131]// 000000006310: D3D70080 0E038542
	v_mfma_i32_16x16x32_i8 v[128:131], a[68:69], v[196:197], v[128:131]// 000000006318: D3D70080 0E038944
	buffer_load_dword v24, s[20:23], 0 offen lds               // 000000006320: E0511000 80050018
	s_add_u32 m0, 0x100, s51                                   // 000000006328: 807C33FF 00000100
	v_mfma_i32_16x16x32_i8 v[128:131], a[70:71], v[198:199], v[128:131]// 000000006330: D3D70080 0E038D46
	v_mfma_i32_16x16x32_i8 v[128:131], a[72:73], v[200:201], v[128:131]// 000000006338: D3D70080 0E039148
	buffer_load_dwordx4 a[4:7], v32, s[24:27], 0 offen offset:1024// 000000006340: E05C1400 80860420
	v_mfma_i32_16x16x32_i8 v[128:131], a[74:75], v[202:203], v[128:131]// 000000006348: D3D70080 0E03954A
	v_mfma_i32_16x16x32_i8 v[128:131], a[76:77], v[204:205], v[128:131]// 000000006350: D3D70080 0E03994C
	buffer_load_dword v25, s[20:23], 0 offen lds               // 000000006358: E0511000 80050019
	s_add_u32 m0, 0x200, s51                                   // 000000006360: 807C33FF 00000200
	v_mfma_i32_16x16x32_i8 v[128:131], a[78:79], v[206:207], v[128:131]// 000000006368: D3D70080 0E039D4E
	v_mfma_i32_16x16x32_i8 v[132:135], a[64:65], v[208:209], v[132:135]// 000000006370: D3D70084 0E13A140
	buffer_load_dwordx4 a[8:11], v32, s[24:27], 0 offen offset:2048// 000000006378: E05C1800 80860820
	v_mfma_i32_16x16x32_i8 v[132:135], a[66:67], v[210:211], v[132:135]// 000000006380: D3D70084 0E13A542
	v_mfma_i32_16x16x32_i8 v[132:135], a[68:69], v[212:213], v[132:135]// 000000006388: D3D70084 0E13A944
	buffer_load_dword v26, s[20:23], 0 offen lds               // 000000006390: E0511000 8005001A
	s_add_u32 m0, 0x300, s51                                   // 000000006398: 807C33FF 00000300
	v_mfma_i32_16x16x32_i8 v[132:135], a[70:71], v[214:215], v[132:135]// 0000000063A0: D3D70084 0E13AD46
	v_mfma_i32_16x16x32_i8 v[132:135], a[72:73], v[216:217], v[132:135]// 0000000063A8: D3D70084 0E13B148
	buffer_load_dwordx4 a[12:15], v32, s[24:27], 0 offen offset:3072// 0000000063B0: E05C1C00 80860C20
	v_mfma_i32_16x16x32_i8 v[132:135], a[74:75], v[218:219], v[132:135]// 0000000063B8: D3D70084 0E13B54A
	v_mfma_i32_16x16x32_i8 v[132:135], a[76:77], v[220:221], v[132:135]// 0000000063C0: D3D70084 0E13B94C
	buffer_load_dword v27, s[20:23], 0 offen lds               // 0000000063C8: E0511000 8005001B
	s_add_u32 m0, 0x400, s51                                   // 0000000063D0: 807C33FF 00000400
	v_mfma_i32_16x16x32_i8 v[132:135], a[78:79], v[222:223], v[132:135]// 0000000063D8: D3D70084 0E13BD4E
	v_mfma_i32_16x16x32_i8 v[136:139], a[80:81], v[192:193], v[136:139]// 0000000063E0: D3D70088 0E238150
	buffer_load_dwordx4 a[16:19], v33, s[24:27], 0 offen       // 0000000063E8: E05C1000 80861021
	v_mfma_i32_16x16x32_i8 v[136:139], a[82:83], v[194:195], v[136:139]// 0000000063F0: D3D70088 0E238552
	v_mfma_i32_16x16x32_i8 v[136:139], a[84:85], v[196:197], v[136:139]// 0000000063F8: D3D70088 0E238954
	buffer_load_dword v28, s[20:23], 0 offen lds               // 000000006400: E0511000 8005001C
	s_add_u32 m0, 0x500, s51                                   // 000000006408: 807C33FF 00000500
	v_mfma_i32_16x16x32_i8 v[136:139], a[86:87], v[198:199], v[136:139]// 000000006410: D3D70088 0E238D56
	v_mfma_i32_16x16x32_i8 v[136:139], a[88:89], v[200:201], v[136:139]// 000000006418: D3D70088 0E239158
	buffer_load_dwordx4 a[20:23], v33, s[24:27], 0 offen offset:1024// 000000006420: E05C1400 80861421
	v_mfma_i32_16x16x32_i8 v[136:139], a[90:91], v[202:203], v[136:139]// 000000006428: D3D70088 0E23955A
	v_mfma_i32_16x16x32_i8 v[136:139], a[92:93], v[204:205], v[136:139]// 000000006430: D3D70088 0E23995C
	buffer_load_dword v29, s[20:23], 0 offen lds               // 000000006438: E0511000 8005001D
	s_add_u32 m0, 0x600, s51                                   // 000000006440: 807C33FF 00000600
	v_mfma_i32_16x16x32_i8 v[136:139], a[94:95], v[206:207], v[136:139]// 000000006448: D3D70088 0E239D5E
	v_mfma_i32_16x16x32_i8 v[140:143], a[80:81], v[208:209], v[140:143]// 000000006450: D3D7008C 0E33A150
	buffer_load_dwordx4 a[24:27], v33, s[24:27], 0 offen offset:2048// 000000006458: E05C1800 80861821
	v_mfma_i32_16x16x32_i8 v[140:143], a[82:83], v[210:211], v[140:143]// 000000006460: D3D7008C 0E33A552
	v_mfma_i32_16x16x32_i8 v[140:143], a[84:85], v[212:213], v[140:143]// 000000006468: D3D7008C 0E33A954
	buffer_load_dword v30, s[20:23], 0 offen lds               // 000000006470: E0511000 8005001E
	s_add_u32 m0, 0x700, s51                                   // 000000006478: 807C33FF 00000700
	v_mfma_i32_16x16x32_i8 v[140:143], a[86:87], v[214:215], v[140:143]// 000000006480: D3D7008C 0E33AD56
	v_mfma_i32_16x16x32_i8 v[140:143], a[88:89], v[216:217], v[140:143]// 000000006488: D3D7008C 0E33B158
	buffer_load_dwordx4 a[28:31], v33, s[24:27], 0 offen offset:3072// 000000006490: E05C1C00 80861C21
	v_mfma_i32_16x16x32_i8 v[140:143], a[90:91], v[218:219], v[140:143]// 000000006498: D3D7008C 0E33B55A
	v_mfma_i32_16x16x32_i8 v[140:143], a[92:93], v[220:221], v[140:143]// 0000000064A0: D3D7008C 0E33B95C
	buffer_load_dword v31, s[20:23], 0 offen lds               // 0000000064A8: E0511000 8005001F
	s_add_u32 m0, 0, s50                                       // 0000000064B0: 807C3280
	v_mfma_i32_16x16x32_i8 v[140:143], a[94:95], v[222:223], v[140:143]// 0000000064B4: D3D7008C 0E33BD5E
	s_waitcnt vmcnt(20)                                        // 0000000064BC: BF8C4F74
	v_mfma_i32_16x16x32_i8 v[144:147], a[96:97], v[192:193], v[144:147]// 0000000064C0: D3D70090 0E438160
	buffer_load_dwordx4 a[32:35], v34, s[24:27], 0 offen       // 0000000064C8: E05C1000 80862022
	v_mfma_i32_16x16x32_i8 v[144:147], a[98:99], v[194:195], v[144:147]// 0000000064D0: D3D70090 0E438562
	v_mfma_i32_16x16x32_i8 v[144:147], a[100:101], v[196:197], v[144:147]// 0000000064D8: D3D70090 0E438964
	ds_read_b128 v[160:163], v2                                // 0000000064E0: D9FE0000 A0000002
	v_mfma_i32_16x16x32_i8 v[144:147], a[102:103], v[198:199], v[144:147]// 0000000064E8: D3D70090 0E438D66
	v_mfma_i32_16x16x32_i8 v[144:147], a[104:105], v[200:201], v[144:147]// 0000000064F0: D3D70090 0E439168
	buffer_load_dwordx4 a[36:39], v34, s[24:27], 0 offen offset:1024// 0000000064F8: E05C1400 80862422
	v_mfma_i32_16x16x32_i8 v[144:147], a[106:107], v[202:203], v[144:147]// 000000006500: D3D70090 0E43956A
	v_mfma_i32_16x16x32_i8 v[144:147], a[108:109], v[204:205], v[144:147]// 000000006508: D3D70090 0E43996C
	ds_read_b128 v[164:167], v2 offset:64                      // 000000006510: D9FE0040 A4000002
	v_mfma_i32_16x16x32_i8 v[144:147], a[110:111], v[206:207], v[144:147]// 000000006518: D3D70090 0E439D6E
	v_mfma_i32_16x16x32_i8 v[148:151], a[96:97], v[208:209], v[148:151]// 000000006520: D3D70094 0E53A160
	buffer_load_dwordx4 a[40:43], v34, s[24:27], 0 offen offset:2048// 000000006528: E05C1800 80862822
	v_mfma_i32_16x16x32_i8 v[148:151], a[98:99], v[210:211], v[148:151]// 000000006530: D3D70094 0E53A562
	v_mfma_i32_16x16x32_i8 v[148:151], a[100:101], v[212:213], v[148:151]// 000000006538: D3D70094 0E53A964
	ds_read_b128 v[168:171], v2 offset:128                     // 000000006540: D9FE0080 A8000002
	v_mfma_i32_16x16x32_i8 v[148:151], a[102:103], v[214:215], v[148:151]// 000000006548: D3D70094 0E53AD66
	v_mfma_i32_16x16x32_i8 v[148:151], a[104:105], v[216:217], v[148:151]// 000000006550: D3D70094 0E53B168
	buffer_load_dwordx4 a[44:47], v34, s[24:27], 0 offen offset:3072// 000000006558: E05C1C00 80862C22
	v_mfma_i32_16x16x32_i8 v[148:151], a[106:107], v[218:219], v[148:151]// 000000006560: D3D70094 0E53B56A
	v_mfma_i32_16x16x32_i8 v[148:151], a[108:109], v[220:221], v[148:151]// 000000006568: D3D70094 0E53B96C
	ds_read_b128 v[172:175], v2 offset:192                     // 000000006570: D9FE00C0 AC000002
	v_mfma_i32_16x16x32_i8 v[148:151], a[110:111], v[222:223], v[148:151]// 000000006578: D3D70094 0E53BD6E
	s_waitcnt vmcnt(20)                                        // 000000006580: BF8C4F74
	v_mfma_i32_16x16x32_i8 v[152:155], a[112:113], v[192:193], v[152:155]// 000000006584: D3D70098 0E638170
	buffer_load_dwordx4 a[48:51], v35, s[24:27], 0 offen       // 00000000658C: E05C1000 80863023
	v_mfma_i32_16x16x32_i8 v[152:155], a[114:115], v[194:195], v[152:155]// 000000006594: D3D70098 0E638572
	v_mfma_i32_16x16x32_i8 v[152:155], a[116:117], v[196:197], v[152:155]// 00000000659C: D3D70098 0E638974
	ds_read_b128 v[176:179], v2 offset:1024                    // 0000000065A4: D9FE0400 B0000002
	v_mfma_i32_16x16x32_i8 v[152:155], a[118:119], v[198:199], v[152:155]// 0000000065AC: D3D70098 0E638D76
	v_mfma_i32_16x16x32_i8 v[152:155], a[120:121], v[200:201], v[152:155]// 0000000065B4: D3D70098 0E639178
	buffer_load_dwordx4 a[52:55], v35, s[24:27], 0 offen offset:1024// 0000000065BC: E05C1400 80863423
	v_mfma_i32_16x16x32_i8 v[152:155], a[122:123], v[202:203], v[152:155]// 0000000065C4: D3D70098 0E63957A
	v_mfma_i32_16x16x32_i8 v[152:155], a[124:125], v[204:205], v[152:155]// 0000000065CC: D3D70098 0E63997C
	ds_read_b128 v[180:183], v2 offset:1088                    // 0000000065D4: D9FE0440 B4000002
	v_mfma_i32_16x16x32_i8 v[152:155], a[126:127], v[206:207], v[152:155]// 0000000065DC: D3D70098 0E639D7E
	v_mfma_i32_16x16x32_i8 v[156:159], a[112:113], v[208:209], v[156:159]// 0000000065E4: D3D7009C 0E73A170
	buffer_load_dwordx4 a[56:59], v35, s[24:27], 0 offen offset:2048// 0000000065EC: E05C1800 80863823
	v_mfma_i32_16x16x32_i8 v[156:159], a[114:115], v[210:211], v[156:159]// 0000000065F4: D3D7009C 0E73A572
	v_mfma_i32_16x16x32_i8 v[156:159], a[116:117], v[212:213], v[156:159]// 0000000065FC: D3D7009C 0E73A974
	ds_read_b128 v[184:187], v2 offset:1152                    // 000000006604: D9FE0480 B8000002
	v_mfma_i32_16x16x32_i8 v[156:159], a[118:119], v[214:215], v[156:159]// 00000000660C: D3D7009C 0E73AD76
	v_mfma_i32_16x16x32_i8 v[156:159], a[120:121], v[216:217], v[156:159]// 000000006614: D3D7009C 0E73B178
	buffer_load_dwordx4 a[60:63], v35, s[24:27], 0 offen offset:3072// 00000000661C: E05C1C00 80863C23
	v_mfma_i32_16x16x32_i8 v[156:159], a[122:123], v[218:219], v[156:159]// 000000006624: D3D7009C 0E73B57A
	v_mfma_i32_16x16x32_i8 v[156:159], a[124:125], v[220:221], v[156:159]// 00000000662C: D3D7009C 0E73B97C
	ds_read_b128 v[188:191], v2 offset:1216                    // 000000006634: D9FE04C0 BC000002
	v_mfma_i32_16x16x32_i8 v[156:159], a[126:127], v[222:223], v[156:159]// 00000000663C: D3D7009C 0E73BD7E
	s_add_u32 s60, 0x300, s80                                  // 000000006644: 803C50FF 00000300
	s_cmp_lt_u32 s60, s81                                      // 00000000664C: BF0A513C
	s_cselect_b32 s57, s57, 0                                  // 000000006650: 85398039
	s_add_u32 s60, 0x200, s80                                  // 000000006654: 803C50FF 00000200
	s_cmp_lt_u32 s60, s81                                      // 00000000665C: BF0A513C
	s_cselect_b32 s58, s58, 0                                  // 000000006660: 853A803A
	s_add_u32 s20, s57, s20                                    // 000000006664: 80141439
	s_addc_u32 s21, 0, s21                                     // 000000006668: 82151580
	s_add_u32 s24, s58, s24                                    // 00000000666C: 8018183A
	s_addc_u32 s25, 0, s25                                     // 000000006670: 82191980
	s_addk_i32 s80, 0x100                                      // 000000006674: B7500100
	s_cmp_lt_i32 s80, s81                                      // 000000006678: BF045150
	s_cbranch_scc0 label_0EE1                                  // 00000000667C: BF840001
	s_branch label_0D1C                                        // 000000006680: BF82FE3B

0000000000006684 <label_0EE1>:
	s_mov_b32 s36, -1                                          // 000000006684: BEA400C1
	s_mov_b32 s37, -1                                          // 000000006688: BEA500C1
	s_mov_b64 s[60:61], 0                                      // 00000000668C: BEBC0180
	s_cmp_lt_u32 s82, s66                                      // 000000006690: BF0A4252
	s_cselect_b64 s[20:21], s[36:37], s[60:61]                 // 000000006694: 85943C24
	s_cmp_lt_u32 s83, s66                                      // 000000006698: BF0A4253
	s_cselect_b64 s[22:23], s[36:37], s[60:61]                 // 00000000669C: 85963C24
	s_cmp_lt_u32 s84, s66                                      // 0000000066A0: BF0A4254
	s_cselect_b64 s[24:25], s[36:37], s[60:61]                 // 0000000066A4: 85983C24
	s_cmp_lt_u32 s85, s66                                      // 0000000066A8: BF0A4255
	s_cselect_b64 s[26:27], s[36:37], s[60:61]                 // 0000000066AC: 859A3C24
	s_cmp_lt_u32 s86, s66                                      // 0000000066B0: BF0A4256
	s_cselect_b64 s[28:29], s[36:37], s[60:61]                 // 0000000066B4: 859C3C24
	s_cmp_lt_u32 s87, s66                                      // 0000000066B8: BF0A4257
	s_cselect_b64 s[30:31], s[36:37], s[60:61]                 // 0000000066BC: 859E3C24
	s_cmp_lt_u32 s88, s66                                      // 0000000066C0: BF0A4258
	s_cselect_b64 s[32:33], s[36:37], s[60:61]                 // 0000000066C4: 85A03C24
	s_cmp_lt_u32 s89, s66                                      // 0000000066C8: BF0A4259
	s_cselect_b64 s[34:35], s[36:37], s[60:61]                 // 0000000066CC: 85A23C24
	v_cvt_f32_i32_e32 v128, v128                               // 0000000066D0: 7F000B80
	v_cvt_f32_i32_e32 v129, v129                               // 0000000066D4: 7F020B81
	v_cvt_f32_i32_e32 v130, v130                               // 0000000066D8: 7F040B82
	v_cvt_f32_i32_e32 v131, v131                               // 0000000066DC: 7F060B83
	v_mul_f32_e32 v128, v13, v128                              // 0000000066E0: 0B01010D
	v_mul_f32_e32 v129, v13, v129                              // 0000000066E4: 0B03030D
	v_mul_f32_e32 v130, v13, v130                              // 0000000066E8: 0B05050D
	v_mul_f32_e32 v131, v13, v131                              // 0000000066EC: 0B07070D
	v_mul_f32_dpp v128, v15, v128 row_newbcast:0 row_mask:0xf bank_mask:0xf// 0000000066F0: 0B0100FA FF01500F
	v_mul_f32_dpp v129, v15, v129 row_newbcast:1 row_mask:0xf bank_mask:0xf// 0000000066F8: 0B0302FA FF01510F
	v_mul_f32_dpp v130, v15, v130 row_newbcast:2 row_mask:0xf bank_mask:0xf// 000000006700: 0B0504FA FF01520F
	v_mul_f32_dpp v131, v15, v131 row_newbcast:3 row_mask:0xf bank_mask:0xf// 000000006708: 0B0706FA FF01530F
	v_cvt_f32_i32_e32 v132, v132                               // 000000006710: 7F080B84
	v_cvt_f32_i32_e32 v133, v133                               // 000000006714: 7F0A0B85
	v_cvt_f32_i32_e32 v134, v134                               // 000000006718: 7F0C0B86
	v_cvt_f32_i32_e32 v135, v135                               // 00000000671C: 7F0E0B87
	v_mul_f32_e32 v132, v14, v132                              // 000000006720: 0B09090E
	v_mul_f32_e32 v133, v14, v133                              // 000000006724: 0B0B0B0E
	v_mul_f32_e32 v134, v14, v134                              // 000000006728: 0B0D0D0E
	v_mul_f32_e32 v135, v14, v135                              // 00000000672C: 0B0F0F0E
	v_mul_f32_dpp v132, v15, v132 row_newbcast:0 row_mask:0xf bank_mask:0xf// 000000006730: 0B0908FA FF01500F
	v_mul_f32_dpp v133, v15, v133 row_newbcast:1 row_mask:0xf bank_mask:0xf// 000000006738: 0B0B0AFA FF01510F
	v_mul_f32_dpp v134, v15, v134 row_newbcast:2 row_mask:0xf bank_mask:0xf// 000000006740: 0B0D0CFA FF01520F
	v_mul_f32_dpp v135, v15, v135 row_newbcast:3 row_mask:0xf bank_mask:0xf// 000000006748: 0B0F0EFA FF01530F
	v_cvt_f32_i32_e32 v136, v136                               // 000000006750: 7F100B88
	v_cvt_f32_i32_e32 v137, v137                               // 000000006754: 7F120B89
	v_cvt_f32_i32_e32 v138, v138                               // 000000006758: 7F140B8A
	v_cvt_f32_i32_e32 v139, v139                               // 00000000675C: 7F160B8B
	v_mul_f32_e32 v136, v13, v136                              // 000000006760: 0B11110D
	v_mul_f32_e32 v137, v13, v137                              // 000000006764: 0B13130D
	v_mul_f32_e32 v138, v13, v138                              // 000000006768: 0B15150D
	v_mul_f32_e32 v139, v13, v139                              // 00000000676C: 0B17170D
	v_mul_f32_dpp v136, v15, v136 row_newbcast:4 row_mask:0xf bank_mask:0xf// 000000006770: 0B1110FA FF01540F
	v_mul_f32_dpp v137, v15, v137 row_newbcast:5 row_mask:0xf bank_mask:0xf// 000000006778: 0B1312FA FF01550F
	v_mul_f32_dpp v138, v15, v138 row_newbcast:6 row_mask:0xf bank_mask:0xf// 000000006780: 0B1514FA FF01560F
	v_mul_f32_dpp v139, v15, v139 row_newbcast:7 row_mask:0xf bank_mask:0xf// 000000006788: 0B1716FA FF01570F
	v_cvt_f32_i32_e32 v140, v140                               // 000000006790: 7F180B8C
	v_cvt_f32_i32_e32 v141, v141                               // 000000006794: 7F1A0B8D
	v_cvt_f32_i32_e32 v142, v142                               // 000000006798: 7F1C0B8E
	v_cvt_f32_i32_e32 v143, v143                               // 00000000679C: 7F1E0B8F
	v_mul_f32_e32 v140, v14, v140                              // 0000000067A0: 0B19190E
	v_mul_f32_e32 v141, v14, v141                              // 0000000067A4: 0B1B1B0E
	v_mul_f32_e32 v142, v14, v142                              // 0000000067A8: 0B1D1D0E
	v_mul_f32_e32 v143, v14, v143                              // 0000000067AC: 0B1F1F0E
	v_mul_f32_dpp v140, v15, v140 row_newbcast:4 row_mask:0xf bank_mask:0xf// 0000000067B0: 0B1918FA FF01540F
	v_mul_f32_dpp v141, v15, v141 row_newbcast:5 row_mask:0xf bank_mask:0xf// 0000000067B8: 0B1B1AFA FF01550F
	v_mul_f32_dpp v142, v15, v142 row_newbcast:6 row_mask:0xf bank_mask:0xf// 0000000067C0: 0B1D1CFA FF01560F
	v_mul_f32_dpp v143, v15, v143 row_newbcast:7 row_mask:0xf bank_mask:0xf// 0000000067C8: 0B1F1EFA FF01570F
	v_cvt_f32_i32_e32 v144, v144                               // 0000000067D0: 7F200B90
	v_cvt_f32_i32_e32 v145, v145                               // 0000000067D4: 7F220B91
	v_cvt_f32_i32_e32 v146, v146                               // 0000000067D8: 7F240B92
	v_cvt_f32_i32_e32 v147, v147                               // 0000000067DC: 7F260B93
	v_mul_f32_e32 v144, v13, v144                              // 0000000067E0: 0B21210D
	v_mul_f32_e32 v145, v13, v145                              // 0000000067E4: 0B23230D
	v_mul_f32_e32 v146, v13, v146                              // 0000000067E8: 0B25250D
	v_mul_f32_e32 v147, v13, v147                              // 0000000067EC: 0B27270D
	v_mul_f32_dpp v144, v15, v144 row_newbcast:8 row_mask:0xf bank_mask:0xf// 0000000067F0: 0B2120FA FF01580F
	v_mul_f32_dpp v145, v15, v145 row_newbcast:9 row_mask:0xf bank_mask:0xf// 0000000067F8: 0B2322FA FF01590F
	v_mul_f32_dpp v146, v15, v146 row_newbcast:10 row_mask:0xf bank_mask:0xf// 000000006800: 0B2524FA FF015A0F
	v_mul_f32_dpp v147, v15, v147 row_newbcast:11 row_mask:0xf bank_mask:0xf// 000000006808: 0B2726FA FF015B0F
	v_cvt_f32_i32_e32 v148, v148                               // 000000006810: 7F280B94
	v_cvt_f32_i32_e32 v149, v149                               // 000000006814: 7F2A0B95
	v_cvt_f32_i32_e32 v150, v150                               // 000000006818: 7F2C0B96
	v_cvt_f32_i32_e32 v151, v151                               // 00000000681C: 7F2E0B97
	v_mul_f32_e32 v148, v14, v148                              // 000000006820: 0B29290E
	v_mul_f32_e32 v149, v14, v149                              // 000000006824: 0B2B2B0E
	v_mul_f32_e32 v150, v14, v150                              // 000000006828: 0B2D2D0E
	v_mul_f32_e32 v151, v14, v151                              // 00000000682C: 0B2F2F0E
	v_mul_f32_dpp v148, v15, v148 row_newbcast:8 row_mask:0xf bank_mask:0xf// 000000006830: 0B2928FA FF01580F
	v_mul_f32_dpp v149, v15, v149 row_newbcast:9 row_mask:0xf bank_mask:0xf// 000000006838: 0B2B2AFA FF01590F
	v_mul_f32_dpp v150, v15, v150 row_newbcast:10 row_mask:0xf bank_mask:0xf// 000000006840: 0B2D2CFA FF015A0F
	v_mul_f32_dpp v151, v15, v151 row_newbcast:11 row_mask:0xf bank_mask:0xf// 000000006848: 0B2F2EFA FF015B0F
	v_cvt_f32_i32_e32 v152, v152                               // 000000006850: 7F300B98
	v_cvt_f32_i32_e32 v153, v153                               // 000000006854: 7F320B99
	v_cvt_f32_i32_e32 v154, v154                               // 000000006858: 7F340B9A
	v_cvt_f32_i32_e32 v155, v155                               // 00000000685C: 7F360B9B
	v_mul_f32_e32 v152, v13, v152                              // 000000006860: 0B31310D
	v_mul_f32_e32 v153, v13, v153                              // 000000006864: 0B33330D
	v_mul_f32_e32 v154, v13, v154                              // 000000006868: 0B35350D
	v_mul_f32_e32 v155, v13, v155                              // 00000000686C: 0B37370D
	v_mul_f32_dpp v152, v15, v152 row_newbcast:12 row_mask:0xf bank_mask:0xf// 000000006870: 0B3130FA FF015C0F
	v_mul_f32_dpp v153, v15, v153 row_newbcast:13 row_mask:0xf bank_mask:0xf// 000000006878: 0B3332FA FF015D0F
	v_mul_f32_dpp v154, v15, v154 row_newbcast:14 row_mask:0xf bank_mask:0xf// 000000006880: 0B3534FA FF015E0F
	v_mul_f32_dpp v155, v15, v155 row_newbcast:15 row_mask:0xf bank_mask:0xf// 000000006888: 0B3736FA FF015F0F
	v_cvt_f32_i32_e32 v156, v156                               // 000000006890: 7F380B9C
	v_cvt_f32_i32_e32 v157, v157                               // 000000006894: 7F3A0B9D
	v_cvt_f32_i32_e32 v158, v158                               // 000000006898: 7F3C0B9E
	v_cvt_f32_i32_e32 v159, v159                               // 00000000689C: 7F3E0B9F
	v_mul_f32_e32 v156, v14, v156                              // 0000000068A0: 0B39390E
	v_mul_f32_e32 v157, v14, v157                              // 0000000068A4: 0B3B3B0E
	v_mul_f32_e32 v158, v14, v158                              // 0000000068A8: 0B3D3D0E
	v_mul_f32_e32 v159, v14, v159                              // 0000000068AC: 0B3F3F0E
	v_mul_f32_dpp v156, v15, v156 row_newbcast:12 row_mask:0xf bank_mask:0xf// 0000000068B0: 0B3938FA FF015C0F
	v_mul_f32_dpp v157, v15, v157 row_newbcast:13 row_mask:0xf bank_mask:0xf// 0000000068B8: 0B3B3AFA FF015D0F
	v_mul_f32_dpp v158, v15, v158 row_newbcast:14 row_mask:0xf bank_mask:0xf// 0000000068C0: 0B3D3CFA FF015E0F
	v_mul_f32_dpp v159, v15, v159 row_newbcast:15 row_mask:0xf bank_mask:0xf// 0000000068C8: 0B3F3EFA FF015F0F
	s_waitcnt vmcnt(12)                                        // 0000000068D0: BF8C0F7C
	buffer_load_dwordx4 a[0:3], v36, s[12:15], 0 offen         // 0000000068D4: E05C1000 80830024
	v_mul_f32_e32 v44, v128, v128                              // 0000000068DC: 0A590180
	v_mul_f32_e32 v45, v129, v129                              // 0000000068E0: 0A5B0381
	v_mul_f32_e32 v46, v130, v130                              // 0000000068E4: 0A5D0582
	v_mul_f32_e32 v47, v131, v131                              // 0000000068E8: 0A5F0783
	v_fma_f32 v44, v44, s77, v1                                // 0000000068EC: D1CB002C 04049B2C
	v_fma_f32 v45, v45, s77, v1                                // 0000000068F4: D1CB002D 04049B2D
	v_fma_f32 v46, v46, s77, v1                                // 0000000068FC: D1CB002E 04049B2E
	v_fma_f32 v47, v47, s77, v1                                // 000000006904: D1CB002F 04049B2F
	v_mul_f32_e32 v44, v44, v128                               // 00000000690C: 0A59012C
	v_mul_f32_e32 v45, v45, v129                               // 000000006910: 0A5B032D
	v_mul_f32_e32 v46, v46, v130                               // 000000006914: 0A5D052E
	v_mul_f32_e32 v47, v47, v131                               // 000000006918: 0A5F072F
	v_mul_f32_e64 v44, v44, s6                                 // 00000000691C: D105002C 00000D2C
	v_mul_f32_e64 v45, v45, s6                                 // 000000006924: D105002D 00000D2D
	v_mul_f32_e64 v46, v46, s6                                 // 00000000692C: D105002E 00000D2E
	v_mul_f32_e64 v47, v47, s6                                 // 000000006934: D105002F 00000D2F
	v_exp_f32_e32 v44, v44                                     // 00000000693C: 7E58412C
	v_exp_f32_e32 v45, v45                                     // 000000006940: 7E5A412D
	v_exp_f32_e32 v46, v46                                     // 000000006944: 7E5C412E
	v_exp_f32_e32 v47, v47                                     // 000000006948: 7E5E412F
	buffer_load_dwordx4 a[4:7], v37, s[12:15], 0 offen         // 00000000694C: E05C1000 80830425
	v_add_f32_e64 v44, v44, 1.0                                // 000000006954: D101002C 0001E52C
	v_add_f32_e64 v45, v45, 1.0                                // 00000000695C: D101002D 0001E52D
	v_add_f32_e64 v46, v46, 1.0                                // 000000006964: D101002E 0001E52E
	v_add_f32_e64 v47, v47, 1.0                                // 00000000696C: D101002F 0001E52F
	v_rcp_f32_e32 v44, v44                                     // 000000006974: 7E58452C
	v_rcp_f32_e32 v45, v45                                     // 000000006978: 7E5A452D
	v_rcp_f32_e32 v46, v46                                     // 00000000697C: 7E5C452E
	v_rcp_f32_e32 v47, v47                                     // 000000006980: 7E5E452F
	v_mul_f32_e32 v128, v128, v44                              // 000000006984: 0B005980
	v_mul_f32_e32 v129, v129, v45                              // 000000006988: 0B025B81
	v_mul_f32_e32 v130, v130, v46                              // 00000000698C: 0B045D82
	v_mul_f32_e32 v131, v131, v47                              // 000000006990: 0B065F83
	buffer_load_dwordx4 a[8:11], v38, s[12:15], 0 offen        // 000000006994: E05C1000 80830826
	v_mul_f32_e32 v44, v132, v132                              // 00000000699C: 0A590984
	v_mul_f32_e32 v45, v133, v133                              // 0000000069A0: 0A5B0B85
	v_mul_f32_e32 v46, v134, v134                              // 0000000069A4: 0A5D0D86
	v_mul_f32_e32 v47, v135, v135                              // 0000000069A8: 0A5F0F87
	v_fma_f32 v44, v44, s77, v1                                // 0000000069AC: D1CB002C 04049B2C
	v_fma_f32 v45, v45, s77, v1                                // 0000000069B4: D1CB002D 04049B2D
	v_fma_f32 v46, v46, s77, v1                                // 0000000069BC: D1CB002E 04049B2E
	v_fma_f32 v47, v47, s77, v1                                // 0000000069C4: D1CB002F 04049B2F
	v_mul_f32_e32 v44, v44, v132                               // 0000000069CC: 0A59092C
	v_mul_f32_e32 v45, v45, v133                               // 0000000069D0: 0A5B0B2D
	v_mul_f32_e32 v46, v46, v134                               // 0000000069D4: 0A5D0D2E
	v_mul_f32_e32 v47, v47, v135                               // 0000000069D8: 0A5F0F2F
	v_mul_f32_e64 v44, v44, s6                                 // 0000000069DC: D105002C 00000D2C
	v_mul_f32_e64 v45, v45, s6                                 // 0000000069E4: D105002D 00000D2D
	v_mul_f32_e64 v46, v46, s6                                 // 0000000069EC: D105002E 00000D2E
	v_mul_f32_e64 v47, v47, s6                                 // 0000000069F4: D105002F 00000D2F
	v_exp_f32_e32 v44, v44                                     // 0000000069FC: 7E58412C
	v_exp_f32_e32 v45, v45                                     // 000000006A00: 7E5A412D
	v_exp_f32_e32 v46, v46                                     // 000000006A04: 7E5C412E
	v_exp_f32_e32 v47, v47                                     // 000000006A08: 7E5E412F
	buffer_load_dwordx4 a[12:15], v39, s[12:15], 0 offen       // 000000006A0C: E05C1000 80830C27
	s_add_u32 s12, s78, s12                                    // 000000006A14: 800C0C4E
	s_addc_u32 s13, 0, s13                                     // 000000006A18: 820D0D80
	v_add_f32_e64 v44, v44, 1.0                                // 000000006A1C: D101002C 0001E52C
	v_add_f32_e64 v45, v45, 1.0                                // 000000006A24: D101002D 0001E52D
	v_add_f32_e64 v46, v46, 1.0                                // 000000006A2C: D101002E 0001E52E
	v_add_f32_e64 v47, v47, 1.0                                // 000000006A34: D101002F 0001E52F
	v_rcp_f32_e32 v44, v44                                     // 000000006A3C: 7E58452C
	v_rcp_f32_e32 v45, v45                                     // 000000006A40: 7E5A452D
	v_rcp_f32_e32 v46, v46                                     // 000000006A44: 7E5C452E
	v_rcp_f32_e32 v47, v47                                     // 000000006A48: 7E5E452F
	v_mul_f32_e32 v132, v132, v44                              // 000000006A4C: 0B085984
	v_mul_f32_e32 v133, v133, v45                              // 000000006A50: 0B0A5B85
	v_mul_f32_e32 v134, v134, v46                              // 000000006A54: 0B0C5D86
	v_mul_f32_e32 v135, v135, v47                              // 000000006A58: 0B0E5F87
	s_waitcnt vmcnt(12)                                        // 000000006A5C: BF8C0F7C
	buffer_load_dwordx4 a[16:19], v36, s[12:15], 0 offen       // 000000006A60: E05C1000 80831024
	v_mul_f32_e32 v44, v136, v136                              // 000000006A68: 0A591188
	v_mul_f32_e32 v45, v137, v137                              // 000000006A6C: 0A5B1389
	v_mul_f32_e32 v46, v138, v138                              // 000000006A70: 0A5D158A
	v_mul_f32_e32 v47, v139, v139                              // 000000006A74: 0A5F178B
	v_fma_f32 v44, v44, s77, v1                                // 000000006A78: D1CB002C 04049B2C
	v_fma_f32 v45, v45, s77, v1                                // 000000006A80: D1CB002D 04049B2D
	v_fma_f32 v46, v46, s77, v1                                // 000000006A88: D1CB002E 04049B2E
	v_fma_f32 v47, v47, s77, v1                                // 000000006A90: D1CB002F 04049B2F
	v_mul_f32_e32 v44, v44, v136                               // 000000006A98: 0A59112C
	v_mul_f32_e32 v45, v45, v137                               // 000000006A9C: 0A5B132D
	v_mul_f32_e32 v46, v46, v138                               // 000000006AA0: 0A5D152E
	v_mul_f32_e32 v47, v47, v139                               // 000000006AA4: 0A5F172F
	v_mul_f32_e64 v44, v44, s6                                 // 000000006AA8: D105002C 00000D2C
	v_mul_f32_e64 v45, v45, s6                                 // 000000006AB0: D105002D 00000D2D
	v_mul_f32_e64 v46, v46, s6                                 // 000000006AB8: D105002E 00000D2E
	v_mul_f32_e64 v47, v47, s6                                 // 000000006AC0: D105002F 00000D2F
	v_exp_f32_e32 v44, v44                                     // 000000006AC8: 7E58412C
	v_exp_f32_e32 v45, v45                                     // 000000006ACC: 7E5A412D
	v_exp_f32_e32 v46, v46                                     // 000000006AD0: 7E5C412E
	v_exp_f32_e32 v47, v47                                     // 000000006AD4: 7E5E412F
	buffer_load_dwordx4 a[20:23], v37, s[12:15], 0 offen       // 000000006AD8: E05C1000 80831425
	v_add_f32_e64 v44, v44, 1.0                                // 000000006AE0: D101002C 0001E52C
	v_add_f32_e64 v45, v45, 1.0                                // 000000006AE8: D101002D 0001E52D
	v_add_f32_e64 v46, v46, 1.0                                // 000000006AF0: D101002E 0001E52E
	v_add_f32_e64 v47, v47, 1.0                                // 000000006AF8: D101002F 0001E52F
	v_rcp_f32_e32 v44, v44                                     // 000000006B00: 7E58452C
	v_rcp_f32_e32 v45, v45                                     // 000000006B04: 7E5A452D
	v_rcp_f32_e32 v46, v46                                     // 000000006B08: 7E5C452E
	v_rcp_f32_e32 v47, v47                                     // 000000006B0C: 7E5E452F
	v_mul_f32_e32 v136, v136, v44                              // 000000006B10: 0B105988
	v_mul_f32_e32 v137, v137, v45                              // 000000006B14: 0B125B89
	v_mul_f32_e32 v138, v138, v46                              // 000000006B18: 0B145D8A
	v_mul_f32_e32 v139, v139, v47                              // 000000006B1C: 0B165F8B
	buffer_load_dwordx4 a[24:27], v38, s[12:15], 0 offen       // 000000006B20: E05C1000 80831826
	v_mul_f32_e32 v44, v140, v140                              // 000000006B28: 0A59198C
	v_mul_f32_e32 v45, v141, v141                              // 000000006B2C: 0A5B1B8D
	v_mul_f32_e32 v46, v142, v142                              // 000000006B30: 0A5D1D8E
	v_mul_f32_e32 v47, v143, v143                              // 000000006B34: 0A5F1F8F
	v_fma_f32 v44, v44, s77, v1                                // 000000006B38: D1CB002C 04049B2C
	v_fma_f32 v45, v45, s77, v1                                // 000000006B40: D1CB002D 04049B2D
	v_fma_f32 v46, v46, s77, v1                                // 000000006B48: D1CB002E 04049B2E
	v_fma_f32 v47, v47, s77, v1                                // 000000006B50: D1CB002F 04049B2F
	v_mul_f32_e32 v44, v44, v140                               // 000000006B58: 0A59192C
	v_mul_f32_e32 v45, v45, v141                               // 000000006B5C: 0A5B1B2D
	v_mul_f32_e32 v46, v46, v142                               // 000000006B60: 0A5D1D2E
	v_mul_f32_e32 v47, v47, v143                               // 000000006B64: 0A5F1F2F
	v_mul_f32_e64 v44, v44, s6                                 // 000000006B68: D105002C 00000D2C
	v_mul_f32_e64 v45, v45, s6                                 // 000000006B70: D105002D 00000D2D
	v_mul_f32_e64 v46, v46, s6                                 // 000000006B78: D105002E 00000D2E
	v_mul_f32_e64 v47, v47, s6                                 // 000000006B80: D105002F 00000D2F
	v_exp_f32_e32 v44, v44                                     // 000000006B88: 7E58412C
	v_exp_f32_e32 v45, v45                                     // 000000006B8C: 7E5A412D
	v_exp_f32_e32 v46, v46                                     // 000000006B90: 7E5C412E
	v_exp_f32_e32 v47, v47                                     // 000000006B94: 7E5E412F
	buffer_load_dwordx4 a[28:31], v39, s[12:15], 0 offen       // 000000006B98: E05C1000 80831C27
	s_add_u32 s12, s78, s12                                    // 000000006BA0: 800C0C4E
	s_addc_u32 s13, 0, s13                                     // 000000006BA4: 820D0D80
	v_add_f32_e64 v44, v44, 1.0                                // 000000006BA8: D101002C 0001E52C
	v_add_f32_e64 v45, v45, 1.0                                // 000000006BB0: D101002D 0001E52D
	v_add_f32_e64 v46, v46, 1.0                                // 000000006BB8: D101002E 0001E52E
	v_add_f32_e64 v47, v47, 1.0                                // 000000006BC0: D101002F 0001E52F
	v_rcp_f32_e32 v44, v44                                     // 000000006BC8: 7E58452C
	v_rcp_f32_e32 v45, v45                                     // 000000006BCC: 7E5A452D
	v_rcp_f32_e32 v46, v46                                     // 000000006BD0: 7E5C452E
	v_rcp_f32_e32 v47, v47                                     // 000000006BD4: 7E5E452F
	v_mul_f32_e32 v140, v140, v44                              // 000000006BD8: 0B18598C
	v_mul_f32_e32 v141, v141, v45                              // 000000006BDC: 0B1A5B8D
	v_mul_f32_e32 v142, v142, v46                              // 000000006BE0: 0B1C5D8E
	v_mul_f32_e32 v143, v143, v47                              // 000000006BE4: 0B1E5F8F
	s_waitcnt vmcnt(12)                                        // 000000006BE8: BF8C0F7C
	buffer_load_dwordx4 a[32:35], v36, s[12:15], 0 offen       // 000000006BEC: E05C1000 80832024
	v_mul_f32_e32 v44, v144, v144                              // 000000006BF4: 0A592190
	v_mul_f32_e32 v45, v145, v145                              // 000000006BF8: 0A5B2391
	v_mul_f32_e32 v46, v146, v146                              // 000000006BFC: 0A5D2592
	v_mul_f32_e32 v47, v147, v147                              // 000000006C00: 0A5F2793
	v_fma_f32 v44, v44, s77, v1                                // 000000006C04: D1CB002C 04049B2C
	v_fma_f32 v45, v45, s77, v1                                // 000000006C0C: D1CB002D 04049B2D
	v_fma_f32 v46, v46, s77, v1                                // 000000006C14: D1CB002E 04049B2E
	v_fma_f32 v47, v47, s77, v1                                // 000000006C1C: D1CB002F 04049B2F
	v_mul_f32_e32 v44, v44, v144                               // 000000006C24: 0A59212C
	v_mul_f32_e32 v45, v45, v145                               // 000000006C28: 0A5B232D
	v_mul_f32_e32 v46, v46, v146                               // 000000006C2C: 0A5D252E
	v_mul_f32_e32 v47, v47, v147                               // 000000006C30: 0A5F272F
	v_mul_f32_e64 v44, v44, s6                                 // 000000006C34: D105002C 00000D2C
	v_mul_f32_e64 v45, v45, s6                                 // 000000006C3C: D105002D 00000D2D
	v_mul_f32_e64 v46, v46, s6                                 // 000000006C44: D105002E 00000D2E
	v_mul_f32_e64 v47, v47, s6                                 // 000000006C4C: D105002F 00000D2F
	v_exp_f32_e32 v44, v44                                     // 000000006C54: 7E58412C
	v_exp_f32_e32 v45, v45                                     // 000000006C58: 7E5A412D
	v_exp_f32_e32 v46, v46                                     // 000000006C5C: 7E5C412E
	v_exp_f32_e32 v47, v47                                     // 000000006C60: 7E5E412F
	buffer_load_dwordx4 a[36:39], v37, s[12:15], 0 offen       // 000000006C64: E05C1000 80832425
	v_add_f32_e64 v44, v44, 1.0                                // 000000006C6C: D101002C 0001E52C
	v_add_f32_e64 v45, v45, 1.0                                // 000000006C74: D101002D 0001E52D
	v_add_f32_e64 v46, v46, 1.0                                // 000000006C7C: D101002E 0001E52E
	v_add_f32_e64 v47, v47, 1.0                                // 000000006C84: D101002F 0001E52F
	v_rcp_f32_e32 v44, v44                                     // 000000006C8C: 7E58452C
	v_rcp_f32_e32 v45, v45                                     // 000000006C90: 7E5A452D
	v_rcp_f32_e32 v46, v46                                     // 000000006C94: 7E5C452E
	v_rcp_f32_e32 v47, v47                                     // 000000006C98: 7E5E452F
	v_mul_f32_e32 v144, v144, v44                              // 000000006C9C: 0B205990
	v_mul_f32_e32 v145, v145, v45                              // 000000006CA0: 0B225B91
	v_mul_f32_e32 v146, v146, v46                              // 000000006CA4: 0B245D92
	v_mul_f32_e32 v147, v147, v47                              // 000000006CA8: 0B265F93
	buffer_load_dwordx4 a[40:43], v38, s[12:15], 0 offen       // 000000006CAC: E05C1000 80832826
	v_mul_f32_e32 v44, v148, v148                              // 000000006CB4: 0A592994
	v_mul_f32_e32 v45, v149, v149                              // 000000006CB8: 0A5B2B95
	v_mul_f32_e32 v46, v150, v150                              // 000000006CBC: 0A5D2D96
	v_mul_f32_e32 v47, v151, v151                              // 000000006CC0: 0A5F2F97
	v_fma_f32 v44, v44, s77, v1                                // 000000006CC4: D1CB002C 04049B2C
	v_fma_f32 v45, v45, s77, v1                                // 000000006CCC: D1CB002D 04049B2D
	v_fma_f32 v46, v46, s77, v1                                // 000000006CD4: D1CB002E 04049B2E
	v_fma_f32 v47, v47, s77, v1                                // 000000006CDC: D1CB002F 04049B2F
	v_mul_f32_e32 v44, v44, v148                               // 000000006CE4: 0A59292C
	v_mul_f32_e32 v45, v45, v149                               // 000000006CE8: 0A5B2B2D
	v_mul_f32_e32 v46, v46, v150                               // 000000006CEC: 0A5D2D2E
	v_mul_f32_e32 v47, v47, v151                               // 000000006CF0: 0A5F2F2F
	v_mul_f32_e64 v44, v44, s6                                 // 000000006CF4: D105002C 00000D2C
	v_mul_f32_e64 v45, v45, s6                                 // 000000006CFC: D105002D 00000D2D
	v_mul_f32_e64 v46, v46, s6                                 // 000000006D04: D105002E 00000D2E
	v_mul_f32_e64 v47, v47, s6                                 // 000000006D0C: D105002F 00000D2F
	v_exp_f32_e32 v44, v44                                     // 000000006D14: 7E58412C
	v_exp_f32_e32 v45, v45                                     // 000000006D18: 7E5A412D
	v_exp_f32_e32 v46, v46                                     // 000000006D1C: 7E5C412E
	v_exp_f32_e32 v47, v47                                     // 000000006D20: 7E5E412F
	buffer_load_dwordx4 a[44:47], v39, s[12:15], 0 offen       // 000000006D24: E05C1000 80832C27
	s_add_u32 s12, s78, s12                                    // 000000006D2C: 800C0C4E
	s_addc_u32 s13, 0, s13                                     // 000000006D30: 820D0D80
	v_add_f32_e64 v44, v44, 1.0                                // 000000006D34: D101002C 0001E52C
	v_add_f32_e64 v45, v45, 1.0                                // 000000006D3C: D101002D 0001E52D
	v_add_f32_e64 v46, v46, 1.0                                // 000000006D44: D101002E 0001E52E
	v_add_f32_e64 v47, v47, 1.0                                // 000000006D4C: D101002F 0001E52F
	v_rcp_f32_e32 v44, v44                                     // 000000006D54: 7E58452C
	v_rcp_f32_e32 v45, v45                                     // 000000006D58: 7E5A452D
	v_rcp_f32_e32 v46, v46                                     // 000000006D5C: 7E5C452E
	v_rcp_f32_e32 v47, v47                                     // 000000006D60: 7E5E452F
	v_mul_f32_e32 v148, v148, v44                              // 000000006D64: 0B285994
	v_mul_f32_e32 v149, v149, v45                              // 000000006D68: 0B2A5B95
	v_mul_f32_e32 v150, v150, v46                              // 000000006D6C: 0B2C5D96
	v_mul_f32_e32 v151, v151, v47                              // 000000006D70: 0B2E5F97
	s_waitcnt vmcnt(12)                                        // 000000006D74: BF8C0F7C
	buffer_load_dwordx4 a[48:51], v36, s[12:15], 0 offen       // 000000006D78: E05C1000 80833024
	v_mul_f32_e32 v44, v152, v152                              // 000000006D80: 0A593198
	v_mul_f32_e32 v45, v153, v153                              // 000000006D84: 0A5B3399
	v_mul_f32_e32 v46, v154, v154                              // 000000006D88: 0A5D359A
	v_mul_f32_e32 v47, v155, v155                              // 000000006D8C: 0A5F379B
	v_fma_f32 v44, v44, s77, v1                                // 000000006D90: D1CB002C 04049B2C
	v_fma_f32 v45, v45, s77, v1                                // 000000006D98: D1CB002D 04049B2D
	v_fma_f32 v46, v46, s77, v1                                // 000000006DA0: D1CB002E 04049B2E
	v_fma_f32 v47, v47, s77, v1                                // 000000006DA8: D1CB002F 04049B2F
	v_mul_f32_e32 v44, v44, v152                               // 000000006DB0: 0A59312C
	v_mul_f32_e32 v45, v45, v153                               // 000000006DB4: 0A5B332D
	v_mul_f32_e32 v46, v46, v154                               // 000000006DB8: 0A5D352E
	v_mul_f32_e32 v47, v47, v155                               // 000000006DBC: 0A5F372F
	v_mul_f32_e64 v44, v44, s6                                 // 000000006DC0: D105002C 00000D2C
	v_mul_f32_e64 v45, v45, s6                                 // 000000006DC8: D105002D 00000D2D
	v_mul_f32_e64 v46, v46, s6                                 // 000000006DD0: D105002E 00000D2E
	v_mul_f32_e64 v47, v47, s6                                 // 000000006DD8: D105002F 00000D2F
	v_exp_f32_e32 v44, v44                                     // 000000006DE0: 7E58412C
	v_exp_f32_e32 v45, v45                                     // 000000006DE4: 7E5A412D
	v_exp_f32_e32 v46, v46                                     // 000000006DE8: 7E5C412E
	v_exp_f32_e32 v47, v47                                     // 000000006DEC: 7E5E412F
	buffer_load_dwordx4 a[52:55], v37, s[12:15], 0 offen       // 000000006DF0: E05C1000 80833425
	v_add_f32_e64 v44, v44, 1.0                                // 000000006DF8: D101002C 0001E52C
	v_add_f32_e64 v45, v45, 1.0                                // 000000006E00: D101002D 0001E52D
	v_add_f32_e64 v46, v46, 1.0                                // 000000006E08: D101002E 0001E52E
	v_add_f32_e64 v47, v47, 1.0                                // 000000006E10: D101002F 0001E52F
	v_rcp_f32_e32 v44, v44                                     // 000000006E18: 7E58452C
	v_rcp_f32_e32 v45, v45                                     // 000000006E1C: 7E5A452D
	v_rcp_f32_e32 v46, v46                                     // 000000006E20: 7E5C452E
	v_rcp_f32_e32 v47, v47                                     // 000000006E24: 7E5E452F
	v_mul_f32_e32 v152, v152, v44                              // 000000006E28: 0B305998
	v_mul_f32_e32 v153, v153, v45                              // 000000006E2C: 0B325B99
	v_mul_f32_e32 v154, v154, v46                              // 000000006E30: 0B345D9A
	v_mul_f32_e32 v155, v155, v47                              // 000000006E34: 0B365F9B
	buffer_load_dwordx4 a[56:59], v38, s[12:15], 0 offen       // 000000006E38: E05C1000 80833826
	v_mul_f32_e32 v44, v156, v156                              // 000000006E40: 0A59399C
	v_mul_f32_e32 v45, v157, v157                              // 000000006E44: 0A5B3B9D
	v_mul_f32_e32 v46, v158, v158                              // 000000006E48: 0A5D3D9E
	v_mul_f32_e32 v47, v159, v159                              // 000000006E4C: 0A5F3F9F
	v_fma_f32 v44, v44, s77, v1                                // 000000006E50: D1CB002C 04049B2C
	v_fma_f32 v45, v45, s77, v1                                // 000000006E58: D1CB002D 04049B2D
	v_fma_f32 v46, v46, s77, v1                                // 000000006E60: D1CB002E 04049B2E
	v_fma_f32 v47, v47, s77, v1                                // 000000006E68: D1CB002F 04049B2F
	v_mul_f32_e32 v44, v44, v156                               // 000000006E70: 0A59392C
	v_mul_f32_e32 v45, v45, v157                               // 000000006E74: 0A5B3B2D
	v_mul_f32_e32 v46, v46, v158                               // 000000006E78: 0A5D3D2E
	v_mul_f32_e32 v47, v47, v159                               // 000000006E7C: 0A5F3F2F
	v_mul_f32_e64 v44, v44, s6                                 // 000000006E80: D105002C 00000D2C
	v_mul_f32_e64 v45, v45, s6                                 // 000000006E88: D105002D 00000D2D
	v_mul_f32_e64 v46, v46, s6                                 // 000000006E90: D105002E 00000D2E
	v_mul_f32_e64 v47, v47, s6                                 // 000000006E98: D105002F 00000D2F
	v_exp_f32_e32 v44, v44                                     // 000000006EA0: 7E58412C
	v_exp_f32_e32 v45, v45                                     // 000000006EA4: 7E5A412D
	v_exp_f32_e32 v46, v46                                     // 000000006EA8: 7E5C412E
	v_exp_f32_e32 v47, v47                                     // 000000006EAC: 7E5E412F
	buffer_load_dwordx4 a[60:63], v39, s[12:15], 0 offen       // 000000006EB0: E05C1000 80833C27
	v_add_f32_e64 v44, v44, 1.0                                // 000000006EB8: D101002C 0001E52C
	v_add_f32_e64 v45, v45, 1.0                                // 000000006EC0: D101002D 0001E52D
	v_add_f32_e64 v46, v46, 1.0                                // 000000006EC8: D101002E 0001E52E
	v_add_f32_e64 v47, v47, 1.0                                // 000000006ED0: D101002F 0001E52F
	v_rcp_f32_e32 v44, v44                                     // 000000006ED8: 7E58452C
	v_rcp_f32_e32 v45, v45                                     // 000000006EDC: 7E5A452D
	v_rcp_f32_e32 v46, v46                                     // 000000006EE0: 7E5C452E
	v_rcp_f32_e32 v47, v47                                     // 000000006EE4: 7E5E452F
	v_mul_f32_e32 v156, v156, v44                              // 000000006EE8: 0B38599C
	v_mul_f32_e32 v157, v157, v45                              // 000000006EEC: 0B3A5B9D
	v_mul_f32_e32 v158, v158, v46                              // 000000006EF0: 0B3C5D9E
	v_mul_f32_e32 v159, v159, v47                              // 000000006EF4: 0B3E5F9F
	v_mul_f32_dpp v128, v16, v128 row_newbcast:0 row_mask:0xf bank_mask:0xf// 000000006EF8: 0B0100FA FF015010
	v_mul_f32_dpp v129, v16, v129 row_newbcast:1 row_mask:0xf bank_mask:0xf// 000000006F00: 0B0302FA FF015110
	v_mul_f32_dpp v130, v16, v130 row_newbcast:2 row_mask:0xf bank_mask:0xf// 000000006F08: 0B0504FA FF015210
	v_mul_f32_dpp v131, v16, v131 row_newbcast:3 row_mask:0xf bank_mask:0xf// 000000006F10: 0B0706FA FF015310
	v_mul_f32_dpp v132, v16, v132 row_newbcast:0 row_mask:0xf bank_mask:0xf// 000000006F18: 0B0908FA FF015010
	v_mul_f32_dpp v133, v16, v133 row_newbcast:1 row_mask:0xf bank_mask:0xf// 000000006F20: 0B0B0AFA FF015110
	v_mul_f32_dpp v134, v16, v134 row_newbcast:2 row_mask:0xf bank_mask:0xf// 000000006F28: 0B0D0CFA FF015210
	v_mul_f32_dpp v135, v16, v135 row_newbcast:3 row_mask:0xf bank_mask:0xf// 000000006F30: 0B0F0EFA FF015310
	v_mul_f32_dpp v136, v16, v136 row_newbcast:4 row_mask:0xf bank_mask:0xf// 000000006F38: 0B1110FA FF015410
	v_mul_f32_dpp v137, v16, v137 row_newbcast:5 row_mask:0xf bank_mask:0xf// 000000006F40: 0B1312FA FF015510
	v_mul_f32_dpp v138, v16, v138 row_newbcast:6 row_mask:0xf bank_mask:0xf// 000000006F48: 0B1514FA FF015610
	v_mul_f32_dpp v139, v16, v139 row_newbcast:7 row_mask:0xf bank_mask:0xf// 000000006F50: 0B1716FA FF015710
	v_mul_f32_dpp v140, v16, v140 row_newbcast:4 row_mask:0xf bank_mask:0xf// 000000006F58: 0B1918FA FF015410
	v_mul_f32_dpp v141, v16, v141 row_newbcast:5 row_mask:0xf bank_mask:0xf// 000000006F60: 0B1B1AFA FF015510
	v_mul_f32_dpp v142, v16, v142 row_newbcast:6 row_mask:0xf bank_mask:0xf// 000000006F68: 0B1D1CFA FF015610
	v_mul_f32_dpp v143, v16, v143 row_newbcast:7 row_mask:0xf bank_mask:0xf// 000000006F70: 0B1F1EFA FF015710
	v_mul_f32_dpp v144, v16, v144 row_newbcast:8 row_mask:0xf bank_mask:0xf// 000000006F78: 0B2120FA FF015810
	v_mul_f32_dpp v145, v16, v145 row_newbcast:9 row_mask:0xf bank_mask:0xf// 000000006F80: 0B2322FA FF015910
	v_mul_f32_dpp v146, v16, v146 row_newbcast:10 row_mask:0xf bank_mask:0xf// 000000006F88: 0B2524FA FF015A10
	v_mul_f32_dpp v147, v16, v147 row_newbcast:11 row_mask:0xf bank_mask:0xf// 000000006F90: 0B2726FA FF015B10
	v_mul_f32_dpp v148, v16, v148 row_newbcast:8 row_mask:0xf bank_mask:0xf// 000000006F98: 0B2928FA FF015810
	v_mul_f32_dpp v149, v16, v149 row_newbcast:9 row_mask:0xf bank_mask:0xf// 000000006FA0: 0B2B2AFA FF015910
	v_mul_f32_dpp v150, v16, v150 row_newbcast:10 row_mask:0xf bank_mask:0xf// 000000006FA8: 0B2D2CFA FF015A10
	v_mul_f32_dpp v151, v16, v151 row_newbcast:11 row_mask:0xf bank_mask:0xf// 000000006FB0: 0B2F2EFA FF015B10
	v_mul_f32_dpp v152, v16, v152 row_newbcast:12 row_mask:0xf bank_mask:0xf// 000000006FB8: 0B3130FA FF015C10
	v_mul_f32_dpp v153, v16, v153 row_newbcast:13 row_mask:0xf bank_mask:0xf// 000000006FC0: 0B3332FA FF015D10
	v_mul_f32_dpp v154, v16, v154 row_newbcast:14 row_mask:0xf bank_mask:0xf// 000000006FC8: 0B3534FA FF015E10
	v_mul_f32_dpp v155, v16, v155 row_newbcast:15 row_mask:0xf bank_mask:0xf// 000000006FD0: 0B3736FA FF015F10
	v_mul_f32_dpp v156, v16, v156 row_newbcast:12 row_mask:0xf bank_mask:0xf// 000000006FD8: 0B3938FA FF015C10
	v_mul_f32_dpp v157, v16, v157 row_newbcast:13 row_mask:0xf bank_mask:0xf// 000000006FE0: 0B3B3AFA FF015D10
	v_mul_f32_dpp v158, v16, v158 row_newbcast:14 row_mask:0xf bank_mask:0xf// 000000006FE8: 0B3D3CFA FF015E10
	v_mul_f32_dpp v159, v16, v159 row_newbcast:15 row_mask:0xf bank_mask:0xf// 000000006FF0: 0B3F3EFA FF015F10
	buffer_load_dword v11, v5, s[16:19], 0 offen               // 000000006FF8: E0501000 80040B05
	v_mov_b32_e32 v20, 0x358637bd                              // 000000007000: 7E2802FF 358637BD
	v_mov_b32_e32 v21, 0x358637bd                              // 000000007008: 7E2A02FF 358637BD
	v_max3_f32 v20, |v128|, |v129|, v20                        // 000000007010: D1D30314 04530380
	v_max3_f32 v20, |v130|, |v131|, v20                        // 000000007018: D1D30314 04530782
	v_max3_f32 v21, |v132|, |v133|, v21                        // 000000007020: D1D30315 04570B84
	v_max3_f32 v21, |v134|, |v135|, v21                        // 000000007028: D1D30315 04570F86
	v_max3_f32 v20, |v136|, |v137|, v20                        // 000000007030: D1D30314 04531388
	v_max3_f32 v20, |v138|, |v139|, v20                        // 000000007038: D1D30314 0453178A
	v_max3_f32 v21, |v140|, |v141|, v21                        // 000000007040: D1D30315 04571B8C
	v_max3_f32 v21, |v142|, |v143|, v21                        // 000000007048: D1D30315 04571F8E
	v_max3_f32 v20, |v144|, |v145|, v20                        // 000000007050: D1D30314 04532390
	v_max3_f32 v20, |v146|, |v147|, v20                        // 000000007058: D1D30314 04532792
	v_max3_f32 v21, |v148|, |v149|, v21                        // 000000007060: D1D30315 04572B94
	v_max3_f32 v21, |v150|, |v151|, v21                        // 000000007068: D1D30315 04572F96
	v_max3_f32 v20, |v152|, |v153|, v20                        // 000000007070: D1D30314 04533398
	v_max3_f32 v20, |v154|, |v155|, v20                        // 000000007078: D1D30314 0453379A
	v_max3_f32 v21, |v156|, |v157|, v21                        // 000000007080: D1D30315 04573B9C
	v_max3_f32 v21, |v158|, |v159|, v21                        // 000000007088: D1D30315 04573F9E
	v_lshlrev_b32_e32 v44, 3, v0                               // 000000007090: 24580083
	s_mul_i32 s60, 0x200, s7                                   // 000000007094: 923C07FF 00000200
	v_add_u32_e32 v44, s60, v44                                // 00000000709C: 6858583C
	ds_write_b64 v44, v[20:21] offset:16640                    // 0000000070A0: D89A4100 0000142C
	s_waitcnt lgkmcnt(0)                                       // 0000000070A8: BF8CC07F
	s_barrier                                                  // 0000000070AC: BF8A0000
	v_and_b32_e32 v44, 15, v0                                  // 0000000070B0: 2658008F
	v_lshlrev_b32_e32 v44, 3, v44                              // 0000000070B4: 24585883
	ds_read_b64 v[96:97], v44 offset:16640                     // 0000000070B8: D8EC4100 6000002C
	ds_read_b64 v[98:99], v44 offset:16768                     // 0000000070C0: D8EC4180 6200002C
	ds_read_b64 v[100:101], v44 offset:16896                   // 0000000070C8: D8EC4200 6400002C
	ds_read_b64 v[102:103], v44 offset:17024                   // 0000000070D0: D8EC4280 6600002C
	ds_read_b64 v[104:105], v44 offset:17152                   // 0000000070D8: D8EC4300 6800002C
	ds_read_b64 v[106:107], v44 offset:17280                   // 0000000070E0: D8EC4380 6A00002C
	ds_read_b64 v[108:109], v44 offset:17408                   // 0000000070E8: D8EC4400 6C00002C
	ds_read_b64 v[110:111], v44 offset:17536                   // 0000000070F0: D8EC4480 6E00002C
	ds_read_b64 v[112:113], v44 offset:17664                   // 0000000070F8: D8EC4500 7000002C
	ds_read_b64 v[114:115], v44 offset:17792                   // 000000007100: D8EC4580 7200002C
	ds_read_b64 v[116:117], v44 offset:17920                   // 000000007108: D8EC4600 7400002C
	ds_read_b64 v[118:119], v44 offset:18048                   // 000000007110: D8EC4680 7600002C
	ds_read_b64 v[120:121], v44 offset:18176                   // 000000007118: D8EC4700 7800002C
	ds_read_b64 v[122:123], v44 offset:18304                   // 000000007120: D8EC4780 7A00002C
	ds_read_b64 v[124:125], v44 offset:18432                   // 000000007128: D8EC4800 7C00002C
	ds_read_b64 v[126:127], v44 offset:18560                   // 000000007130: D8EC4880 7E00002C
	s_waitcnt lgkmcnt(0)                                       // 000000007138: BF8CC07F
	v_max3_f32 v20, |v96|, |v98|, v20                          // 00000000713C: D1D30314 0452C560
	v_max3_f32 v21, |v97|, |v99|, v21                          // 000000007144: D1D30315 0456C761
	v_max3_f32 v20, |v100|, |v102|, v20                        // 00000000714C: D1D30314 0452CD64
	v_max3_f32 v21, |v101|, |v103|, v21                        // 000000007154: D1D30315 0456CF65
	v_max3_f32 v20, |v104|, |v106|, v20                        // 00000000715C: D1D30314 0452D568
	v_max3_f32 v21, |v105|, |v107|, v21                        // 000000007164: D1D30315 0456D769
	v_max3_f32 v20, |v108|, |v110|, v20                        // 00000000716C: D1D30314 0452DD6C
	v_max3_f32 v21, |v109|, |v111|, v21                        // 000000007174: D1D30315 0456DF6D
	v_max3_f32 v20, |v112|, |v114|, v20                        // 00000000717C: D1D30314 0452E570
	v_max3_f32 v21, |v113|, |v115|, v21                        // 000000007184: D1D30315 0456E771
	v_max3_f32 v20, |v116|, |v118|, v20                        // 00000000718C: D1D30314 0452ED74
	v_max3_f32 v21, |v117|, |v119|, v21                        // 000000007194: D1D30315 0456EF75
	v_max3_f32 v20, |v120|, |v122|, v20                        // 00000000719C: D1D30314 0452F578
	v_max3_f32 v21, |v121|, |v123|, v21                        // 0000000071A4: D1D30315 0456F779
	v_max3_f32 v20, |v124|, |v126|, v20                        // 0000000071AC: D1D30314 0452FD7C
	v_max3_f32 v21, |v125|, |v127|, v21                        // 0000000071B4: D1D30315 0456FF7D
	v_rcp_f32_e32 v20, v20                                     // 0000000071BC: 7E284514
	v_rcp_f32_e32 v21, v21                                     // 0000000071C0: 7E2A4515
	v_mul_f32_e32 v20, 0x42fe0000, v20                         // 0000000071C4: 0A2828FF 42FE0000
	v_mul_f32_e32 v21, 0x42fe0000, v21                         // 0000000071CC: 0A2A2AFF 42FE0000
	v_mul_f32_e32 v128, v20, v128                              // 0000000071D4: 0B010114
	v_mul_f32_e32 v129, v20, v129                              // 0000000071D8: 0B030314
	v_mul_f32_e32 v130, v20, v130                              // 0000000071DC: 0B050514
	v_mul_f32_e32 v131, v20, v131                              // 0000000071E0: 0B070714
	v_cvt_i32_f32_e32 v128, v128                               // 0000000071E4: 7F001180
	v_cvt_i32_f32_e32 v129, v129                               // 0000000071E8: 7F021181
	v_cvt_i32_f32_e32 v130, v130                               // 0000000071EC: 7F041182
	v_cvt_i32_f32_e32 v131, v131                               // 0000000071F0: 7F061183
	v_perm_b32 v128, v129, v128, s53                           // 0000000071F4: D1ED0080 00D70181
	v_perm_b32 v128, v130, v128, s54                           // 0000000071FC: D1ED0080 00DB0182
	v_perm_b32 v128, v131, v128, s55                           // 000000007204: D1ED0080 00DF0183
	v_mul_f32_e32 v132, v21, v132                              // 00000000720C: 0B090915
	v_mul_f32_e32 v133, v21, v133                              // 000000007210: 0B0B0B15
	v_mul_f32_e32 v134, v21, v134                              // 000000007214: 0B0D0D15
	v_mul_f32_e32 v135, v21, v135                              // 000000007218: 0B0F0F15
	v_cvt_i32_f32_e32 v132, v132                               // 00000000721C: 7F081184
	v_cvt_i32_f32_e32 v133, v133                               // 000000007220: 7F0A1185
	v_cvt_i32_f32_e32 v134, v134                               // 000000007224: 7F0C1186
	v_cvt_i32_f32_e32 v135, v135                               // 000000007228: 7F0E1187
	v_perm_b32 v129, v133, v132, s53                           // 00000000722C: D1ED0081 00D70985
	v_perm_b32 v129, v134, v129, s54                           // 000000007234: D1ED0081 00DB0386
	v_perm_b32 v129, v135, v129, s55                           // 00000000723C: D1ED0081 00DF0387
	v_mul_f32_e32 v136, v20, v136                              // 000000007244: 0B111114
	v_mul_f32_e32 v137, v20, v137                              // 000000007248: 0B131314
	v_mul_f32_e32 v138, v20, v138                              // 00000000724C: 0B151514
	v_mul_f32_e32 v139, v20, v139                              // 000000007250: 0B171714
	v_cvt_i32_f32_e32 v136, v136                               // 000000007254: 7F101188
	v_cvt_i32_f32_e32 v137, v137                               // 000000007258: 7F121189
	v_cvt_i32_f32_e32 v138, v138                               // 00000000725C: 7F14118A
	v_cvt_i32_f32_e32 v139, v139                               // 000000007260: 7F16118B
	v_perm_b32 v130, v137, v136, s53                           // 000000007264: D1ED0082 00D71189
	v_perm_b32 v130, v138, v130, s54                           // 00000000726C: D1ED0082 00DB058A
	v_perm_b32 v130, v139, v130, s55                           // 000000007274: D1ED0082 00DF058B
	v_mul_f32_e32 v140, v21, v140                              // 00000000727C: 0B191915
	v_mul_f32_e32 v141, v21, v141                              // 000000007280: 0B1B1B15
	v_mul_f32_e32 v142, v21, v142                              // 000000007284: 0B1D1D15
	v_mul_f32_e32 v143, v21, v143                              // 000000007288: 0B1F1F15
	v_cvt_i32_f32_e32 v140, v140                               // 00000000728C: 7F18118C
	v_cvt_i32_f32_e32 v141, v141                               // 000000007290: 7F1A118D
	v_cvt_i32_f32_e32 v142, v142                               // 000000007294: 7F1C118E
	v_cvt_i32_f32_e32 v143, v143                               // 000000007298: 7F1E118F
	v_perm_b32 v131, v141, v140, s53                           // 00000000729C: D1ED0083 00D7198D
	v_perm_b32 v131, v142, v131, s54                           // 0000000072A4: D1ED0083 00DB078E
	v_perm_b32 v131, v143, v131, s55                           // 0000000072AC: D1ED0083 00DF078F
	v_mul_f32_e32 v144, v20, v144                              // 0000000072B4: 0B212114
	v_mul_f32_e32 v145, v20, v145                              // 0000000072B8: 0B232314
	v_mul_f32_e32 v146, v20, v146                              // 0000000072BC: 0B252514
	v_mul_f32_e32 v147, v20, v147                              // 0000000072C0: 0B272714
	v_cvt_i32_f32_e32 v144, v144                               // 0000000072C4: 7F201190
	v_cvt_i32_f32_e32 v145, v145                               // 0000000072C8: 7F221191
	v_cvt_i32_f32_e32 v146, v146                               // 0000000072CC: 7F241192
	v_cvt_i32_f32_e32 v147, v147                               // 0000000072D0: 7F261193
	v_perm_b32 v132, v145, v144, s53                           // 0000000072D4: D1ED0084 00D72191
	v_perm_b32 v132, v146, v132, s54                           // 0000000072DC: D1ED0084 00DB0992
	v_perm_b32 v132, v147, v132, s55                           // 0000000072E4: D1ED0084 00DF0993
	v_mul_f32_e32 v148, v21, v148                              // 0000000072EC: 0B292915
	v_mul_f32_e32 v149, v21, v149                              // 0000000072F0: 0B2B2B15
	v_mul_f32_e32 v150, v21, v150                              // 0000000072F4: 0B2D2D15
	v_mul_f32_e32 v151, v21, v151                              // 0000000072F8: 0B2F2F15
	v_cvt_i32_f32_e32 v148, v148                               // 0000000072FC: 7F281194
	v_cvt_i32_f32_e32 v149, v149                               // 000000007300: 7F2A1195
	v_cvt_i32_f32_e32 v150, v150                               // 000000007304: 7F2C1196
	v_cvt_i32_f32_e32 v151, v151                               // 000000007308: 7F2E1197
	v_perm_b32 v133, v149, v148, s53                           // 00000000730C: D1ED0085 00D72995
	v_perm_b32 v133, v150, v133, s54                           // 000000007314: D1ED0085 00DB0B96
	v_perm_b32 v133, v151, v133, s55                           // 00000000731C: D1ED0085 00DF0B97
	v_mul_f32_e32 v152, v20, v152                              // 000000007324: 0B313114
	v_mul_f32_e32 v153, v20, v153                              // 000000007328: 0B333314
	v_mul_f32_e32 v154, v20, v154                              // 00000000732C: 0B353514
	v_mul_f32_e32 v155, v20, v155                              // 000000007330: 0B373714
	v_cvt_i32_f32_e32 v152, v152                               // 000000007334: 7F301198
	v_cvt_i32_f32_e32 v153, v153                               // 000000007338: 7F321199
	v_cvt_i32_f32_e32 v154, v154                               // 00000000733C: 7F34119A
	v_cvt_i32_f32_e32 v155, v155                               // 000000007340: 7F36119B
	v_perm_b32 v134, v153, v152, s53                           // 000000007344: D1ED0086 00D73199
	v_perm_b32 v134, v154, v134, s54                           // 00000000734C: D1ED0086 00DB0D9A
	v_perm_b32 v134, v155, v134, s55                           // 000000007354: D1ED0086 00DF0D9B
	v_mul_f32_e32 v156, v21, v156                              // 00000000735C: 0B393915
	v_mul_f32_e32 v157, v21, v157                              // 000000007360: 0B3B3B15
	v_mul_f32_e32 v158, v21, v158                              // 000000007364: 0B3D3D15
	v_mul_f32_e32 v159, v21, v159                              // 000000007368: 0B3F3F15
	v_cvt_i32_f32_e32 v156, v156                               // 00000000736C: 7F38119C
	v_cvt_i32_f32_e32 v157, v157                               // 000000007370: 7F3A119D
	v_cvt_i32_f32_e32 v158, v158                               // 000000007374: 7F3C119E
	v_cvt_i32_f32_e32 v159, v159                               // 000000007378: 7F3E119F
	v_perm_b32 v135, v157, v156, s53                           // 00000000737C: D1ED0087 00D7399D
	v_perm_b32 v135, v158, v135, s54                           // 000000007384: D1ED0087 00DB0F9E
	v_perm_b32 v135, v159, v135, s55                           // 00000000738C: D1ED0087 00DF0F9F
	v_rcp_f32_e32 v22, v20                                     // 000000007394: 7E2C4514
	v_rcp_f32_e32 v23, v21                                     // 000000007398: 7E2E4515
	v_lshrrev_b32_e32 v44, 5, v0                               // 00000000739C: 20580085
	v_lshlrev_b32_e32 v45, 5, v44                              // 0000000073A0: 245A5885
	v_and_b32_e32 v44, 31, v0                                  // 0000000073A4: 2658009F
	v_lshrrev_b32_e32 v46, 4, v44                              // 0000000073A8: 205C5884
	v_add_u32_e32 v45, v46, v45                                // 0000000073AC: 685A5B2E
	v_and_b32_e32 v44, 15, v0                                  // 0000000073B0: 2658008F
	v_lshlrev_b32_e32 v44, 1, v44                              // 0000000073B4: 24585881
	v_add_u32_e32 v45, v44, v45                                // 0000000073B8: 685A5B2C
	v_lshlrev_b32_e32 v44, 2, v45                              // 0000000073BC: 24585A82
	s_mul_i32 s60, 0x100, s7                                   // 0000000073C0: 923C07FF 00000100
	v_add_u32_e64 v44, v44, s60                                // 0000000073C8: D134002C 0000792C
	ds_write_b32 v44, v128 offset:18688                        // 0000000073D0: D81A4900 0000802C
	ds_write_b32 v44, v129 offset:22784                        // 0000000073D8: D81A5900 0000812C
	ds_write_b32 v44, v130 offset:19712                        // 0000000073E0: D81A4D00 0000822C
	ds_write_b32 v44, v131 offset:23808                        // 0000000073E8: D81A5D00 0000832C
	ds_write_b32 v44, v132 offset:20736                        // 0000000073F0: D81A5100 0000842C
	ds_write_b32 v44, v133 offset:24832                        // 0000000073F8: D81A6100 0000852C
	ds_write_b32 v44, v134 offset:21760                        // 000000007400: D81A5500 0000862C
	ds_write_b32 v44, v135 offset:25856                        // 000000007408: D81A6500 0000872C
	s_waitcnt lgkmcnt(0)                                       // 000000007410: BF8CC07F
	s_barrier                                                  // 000000007414: BF8A0000
	v_lshrrev_b32_e32 v44, 4, v0                               // 000000007418: 20580084
	v_lshlrev_b32_e32 v45, 6, v44                              // 00000000741C: 245A5886
	v_and_b32_e32 v44, 15, v0                                  // 000000007420: 2658008F
	v_lshlrev_b32_e32 v44, 1, v44                              // 000000007424: 24585881
	v_add_u32_e32 v45, v44, v45                                // 000000007428: 685A5B2C
	v_lshlrev_b32_e32 v44, 2, v45                              // 00000000742C: 24585A82
	ds_read_b64 v[128:129], v44 offset:18688                   // 000000007430: D8EC4900 8000002C
	ds_read_b64 v[130:131], v44 offset:18816                   // 000000007438: D8EC4980 8200002C
	ds_read_b64 v[132:133], v44 offset:19712                   // 000000007440: D8EC4D00 8400002C
	ds_read_b64 v[134:135], v44 offset:19840                   // 000000007448: D8EC4D80 8600002C
	ds_read_b64 v[136:137], v44 offset:20736                   // 000000007450: D8EC5100 8800002C
	ds_read_b64 v[138:139], v44 offset:20864                   // 000000007458: D8EC5180 8A00002C
	ds_read_b64 v[140:141], v44 offset:21760                   // 000000007460: D8EC5500 8C00002C
	ds_read_b64 v[142:143], v44 offset:21888                   // 000000007468: D8EC5580 8E00002C
	ds_read_b64 v[144:145], v44 offset:22784                   // 000000007470: D8EC5900 9000002C
	ds_read_b64 v[146:147], v44 offset:22912                   // 000000007478: D8EC5980 9200002C
	ds_read_b64 v[148:149], v44 offset:23808                   // 000000007480: D8EC5D00 9400002C
	ds_read_b64 v[150:151], v44 offset:23936                   // 000000007488: D8EC5D80 9600002C
	ds_read_b64 v[152:153], v44 offset:24832                   // 000000007490: D8EC6100 9800002C
	ds_read_b64 v[154:155], v44 offset:24960                   // 000000007498: D8EC6180 9A00002C
	ds_read_b64 v[156:157], v44 offset:25856                   // 0000000074A0: D8EC6500 9C00002C
	ds_read_b64 v[158:159], v44 offset:25984                   // 0000000074A8: D8EC6580 9E00002C
	s_add_u32 s12, s56, s12                                    // 0000000074B0: 800C0C38
	s_addc_u32 s13, 0, s13                                     // 0000000074B4: 820D0D80
	s_add_u32 s16, s79, s16                                    // 0000000074B8: 8010104F
	s_addc_u32 s17, 0, s17                                     // 0000000074BC: 82111180
	s_mov_b32 s80, 0                                           // 0000000074C0: BED00080
	s_waitcnt vmcnt(0) expcnt(0) lgkmcnt(0)                    // 0000000074C4: BF8C0000

00000000000074c8 <label_1272>:
	s_waitcnt vmcnt(29)                                        // 0000000074C8: BF8C4F7D
	s_barrier                                                  // 0000000074CC: BF8A0000
	v_mfma_i32_16x16x32_i8 v[160:163], a[0:1], v[128:129], 0   // 0000000074D0: D3D700A0 0A030100
	buffer_load_dwordx4 a[64:67], v36, s[12:15], 0 offen       // 0000000074D8: E05C1000 80834024
	v_mfma_i32_16x16x32_i8 v[160:163], a[2:3], v[130:131], v[160:163]// 0000000074E0: D3D700A0 0E830502
	v_mfma_i32_16x16x32_i8 v[164:167], a[0:1], v[144:145], 0   // 0000000074E8: D3D700A4 0A032100
	v_mfma_i32_16x16x32_i8 v[164:167], a[2:3], v[146:147], v[164:167]// 0000000074F0: D3D700A4 0E932502
	v_mfma_i32_16x16x32_i8 v[168:171], a[4:5], v[128:129], 0   // 0000000074F8: D3D700A8 0A030104
	buffer_load_dwordx4 a[68:71], v37, s[12:15], 0 offen       // 000000007500: E05C1000 80834425
	v_mfma_i32_16x16x32_i8 v[168:171], a[6:7], v[130:131], v[168:171]// 000000007508: D3D700A8 0EA30506
	v_mfma_i32_16x16x32_i8 v[172:175], a[4:5], v[144:145], 0   // 000000007510: D3D700AC 0A032104
	v_mfma_i32_16x16x32_i8 v[172:175], a[6:7], v[146:147], v[172:175]// 000000007518: D3D700AC 0EB32506
	v_mfma_i32_16x16x32_i8 v[176:179], a[8:9], v[128:129], 0   // 000000007520: D3D700B0 0A030108
	buffer_load_dwordx4 a[72:75], v38, s[12:15], 0 offen       // 000000007528: E05C1000 80834826
	v_mfma_i32_16x16x32_i8 v[176:179], a[10:11], v[130:131], v[176:179]// 000000007530: D3D700B0 0EC3050A
	v_mfma_i32_16x16x32_i8 v[180:183], a[8:9], v[144:145], 0   // 000000007538: D3D700B4 0A032108
	v_mfma_i32_16x16x32_i8 v[180:183], a[10:11], v[146:147], v[180:183]// 000000007540: D3D700B4 0ED3250A
	v_mfma_i32_16x16x32_i8 v[184:187], a[12:13], v[128:129], 0 // 000000007548: D3D700B8 0A03010C
	buffer_load_dwordx4 a[76:79], v39, s[12:15], 0 offen       // 000000007550: E05C1000 80834C27
	s_add_u32 s12, s78, s12                                    // 000000007558: 800C0C4E
	s_addc_u32 s13, 0, s13                                     // 00000000755C: 820D0D80
	v_mfma_i32_16x16x32_i8 v[184:187], a[14:15], v[130:131], v[184:187]// 000000007560: D3D700B8 0EE3050E
	v_mfma_i32_16x16x32_i8 v[188:191], a[12:13], v[144:145], 0 // 000000007568: D3D700BC 0A03210C
	v_mfma_i32_16x16x32_i8 v[188:191], a[14:15], v[146:147], v[188:191]// 000000007570: D3D700BC 0EF3250E
	s_waitcnt vmcnt(29)                                        // 000000007578: BF8C4F7D
	v_mfma_i32_16x16x32_i8 v[160:163], a[16:17], v[132:133], v[160:163]// 00000000757C: D3D700A0 0E830910
	buffer_load_dwordx4 a[80:83], v36, s[12:15], 0 offen       // 000000007584: E05C1000 80835024
	v_mfma_i32_16x16x32_i8 v[160:163], a[18:19], v[134:135], v[160:163]// 00000000758C: D3D700A0 0E830D12
	v_mfma_i32_16x16x32_i8 v[164:167], a[16:17], v[148:149], v[164:167]// 000000007594: D3D700A4 0E932910
	v_mfma_i32_16x16x32_i8 v[164:167], a[18:19], v[150:151], v[164:167]// 00000000759C: D3D700A4 0E932D12
	v_mfma_i32_16x16x32_i8 v[168:171], a[20:21], v[132:133], v[168:171]// 0000000075A4: D3D700A8 0EA30914
	buffer_load_dwordx4 a[84:87], v37, s[12:15], 0 offen       // 0000000075AC: E05C1000 80835425
	v_mfma_i32_16x16x32_i8 v[168:171], a[22:23], v[134:135], v[168:171]// 0000000075B4: D3D700A8 0EA30D16
	v_mfma_i32_16x16x32_i8 v[172:175], a[20:21], v[148:149], v[172:175]// 0000000075BC: D3D700AC 0EB32914
	v_mfma_i32_16x16x32_i8 v[172:175], a[22:23], v[150:151], v[172:175]// 0000000075C4: D3D700AC 0EB32D16
	v_mfma_i32_16x16x32_i8 v[176:179], a[24:25], v[132:133], v[176:179]// 0000000075CC: D3D700B0 0EC30918
	buffer_load_dwordx4 a[88:91], v38, s[12:15], 0 offen       // 0000000075D4: E05C1000 80835826
	v_mfma_i32_16x16x32_i8 v[176:179], a[26:27], v[134:135], v[176:179]// 0000000075DC: D3D700B0 0EC30D1A
	v_mfma_i32_16x16x32_i8 v[180:183], a[24:25], v[148:149], v[180:183]// 0000000075E4: D3D700B4 0ED32918
	v_mfma_i32_16x16x32_i8 v[180:183], a[26:27], v[150:151], v[180:183]// 0000000075EC: D3D700B4 0ED32D1A
	v_mfma_i32_16x16x32_i8 v[184:187], a[28:29], v[132:133], v[184:187]// 0000000075F4: D3D700B8 0EE3091C
	buffer_load_dwordx4 a[92:95], v39, s[12:15], 0 offen       // 0000000075FC: E05C1000 80835C27
	s_add_u32 s12, s78, s12                                    // 000000007604: 800C0C4E
	s_addc_u32 s13, 0, s13                                     // 000000007608: 820D0D80
	v_mfma_i32_16x16x32_i8 v[184:187], a[30:31], v[134:135], v[184:187]// 00000000760C: D3D700B8 0EE30D1E
	v_mfma_i32_16x16x32_i8 v[188:191], a[28:29], v[148:149], v[188:191]// 000000007614: D3D700BC 0EF3291C
	v_mfma_i32_16x16x32_i8 v[188:191], a[30:31], v[150:151], v[188:191]// 00000000761C: D3D700BC 0EF32D1E
	s_waitcnt vmcnt(29)                                        // 000000007624: BF8C4F7D
	v_mfma_i32_16x16x32_i8 v[160:163], a[32:33], v[136:137], v[160:163]// 000000007628: D3D700A0 0E831120
	buffer_load_dwordx4 a[96:99], v36, s[12:15], 0 offen       // 000000007630: E05C1000 80836024
	v_mfma_i32_16x16x32_i8 v[160:163], a[34:35], v[138:139], v[160:163]// 000000007638: D3D700A0 0E831522
	v_mfma_i32_16x16x32_i8 v[164:167], a[32:33], v[152:153], v[164:167]// 000000007640: D3D700A4 0E933120
	v_mfma_i32_16x16x32_i8 v[164:167], a[34:35], v[154:155], v[164:167]// 000000007648: D3D700A4 0E933522
	v_mfma_i32_16x16x32_i8 v[168:171], a[36:37], v[136:137], v[168:171]// 000000007650: D3D700A8 0EA31124
	buffer_load_dwordx4 a[100:103], v37, s[12:15], 0 offen     // 000000007658: E05C1000 80836425
	v_mfma_i32_16x16x32_i8 v[168:171], a[38:39], v[138:139], v[168:171]// 000000007660: D3D700A8 0EA31526
	v_mfma_i32_16x16x32_i8 v[172:175], a[36:37], v[152:153], v[172:175]// 000000007668: D3D700AC 0EB33124
	v_mfma_i32_16x16x32_i8 v[172:175], a[38:39], v[154:155], v[172:175]// 000000007670: D3D700AC 0EB33526
	v_mfma_i32_16x16x32_i8 v[176:179], a[40:41], v[136:137], v[176:179]// 000000007678: D3D700B0 0EC31128
	buffer_load_dwordx4 a[104:107], v38, s[12:15], 0 offen     // 000000007680: E05C1000 80836826
	v_mfma_i32_16x16x32_i8 v[176:179], a[42:43], v[138:139], v[176:179]// 000000007688: D3D700B0 0EC3152A
	v_mfma_i32_16x16x32_i8 v[180:183], a[40:41], v[152:153], v[180:183]// 000000007690: D3D700B4 0ED33128
	v_mfma_i32_16x16x32_i8 v[180:183], a[42:43], v[154:155], v[180:183]// 000000007698: D3D700B4 0ED3352A
	v_mfma_i32_16x16x32_i8 v[184:187], a[44:45], v[136:137], v[184:187]// 0000000076A0: D3D700B8 0EE3112C
	buffer_load_dwordx4 a[108:111], v39, s[12:15], 0 offen     // 0000000076A8: E05C1000 80836C27
	s_add_u32 s12, s78, s12                                    // 0000000076B0: 800C0C4E
	s_addc_u32 s13, 0, s13                                     // 0000000076B4: 820D0D80
	v_mfma_i32_16x16x32_i8 v[184:187], a[46:47], v[138:139], v[184:187]// 0000000076B8: D3D700B8 0EE3152E
	v_mfma_i32_16x16x32_i8 v[188:191], a[44:45], v[152:153], v[188:191]// 0000000076C0: D3D700BC 0EF3312C
	v_mfma_i32_16x16x32_i8 v[188:191], a[46:47], v[154:155], v[188:191]// 0000000076C8: D3D700BC 0EF3352E
	s_waitcnt vmcnt(28)                                        // 0000000076D0: BF8C4F7C
	v_mfma_i32_16x16x32_i8 v[160:163], a[48:49], v[140:141], v[160:163]// 0000000076D4: D3D700A0 0E831930
	buffer_load_dwordx4 a[112:115], v36, s[12:15], 0 offen     // 0000000076DC: E05C1000 80837024
	v_mfma_i32_16x16x32_i8 v[160:163], a[50:51], v[142:143], v[160:163]// 0000000076E4: D3D700A0 0E831D32
	v_mfma_i32_16x16x32_i8 v[164:167], a[48:49], v[156:157], v[164:167]// 0000000076EC: D3D700A4 0E933930
	buffer_load_dword v12, v5, s[16:19], 0 offen               // 0000000076F4: E0501000 80040C05
	v_mfma_i32_16x16x32_i8 v[164:167], a[50:51], v[158:159], v[164:167]// 0000000076FC: D3D700A4 0E933D32
	v_mfma_i32_16x16x32_i8 v[168:171], a[52:53], v[140:141], v[168:171]// 000000007704: D3D700A8 0EA31934
	buffer_load_dwordx4 a[116:119], v37, s[12:15], 0 offen     // 00000000770C: E05C1000 80837425
	v_mfma_i32_16x16x32_i8 v[168:171], a[54:55], v[142:143], v[168:171]// 000000007714: D3D700A8 0EA31D36
	v_mfma_i32_16x16x32_i8 v[172:175], a[52:53], v[156:157], v[172:175]// 00000000771C: D3D700AC 0EB33934
	v_mfma_i32_16x16x32_i8 v[172:175], a[54:55], v[158:159], v[172:175]// 000000007724: D3D700AC 0EB33D36
	v_mfma_i32_16x16x32_i8 v[176:179], a[56:57], v[140:141], v[176:179]// 00000000772C: D3D700B0 0EC31938
	buffer_load_dwordx4 a[120:123], v38, s[12:15], 0 offen     // 000000007734: E05C1000 80837826
	v_mfma_i32_16x16x32_i8 v[176:179], a[58:59], v[142:143], v[176:179]// 00000000773C: D3D700B0 0EC31D3A
	v_mfma_i32_16x16x32_i8 v[180:183], a[56:57], v[156:157], v[180:183]// 000000007744: D3D700B4 0ED33938
	v_mfma_i32_16x16x32_i8 v[180:183], a[58:59], v[158:159], v[180:183]// 00000000774C: D3D700B4 0ED33D3A
	v_mfma_i32_16x16x32_i8 v[184:187], a[60:61], v[140:141], v[184:187]// 000000007754: D3D700B8 0EE3193C
	buffer_load_dwordx4 a[124:127], v39, s[12:15], 0 offen     // 00000000775C: E05C1000 80837C27
	v_mfma_i32_16x16x32_i8 v[184:187], a[62:63], v[142:143], v[184:187]// 000000007764: D3D700B8 0EE31D3E
	v_mfma_i32_16x16x32_i8 v[188:191], a[60:61], v[156:157], v[188:191]// 00000000776C: D3D700BC 0EF3393C
	v_mfma_i32_16x16x32_i8 v[188:191], a[62:63], v[158:159], v[188:191]// 000000007774: D3D700BC 0EF33D3E
	s_add_u32 s60, 0x200, s80                                  // 00000000777C: 803C50FF 00000200
	s_cmp_lt_u32 s60, s81                                      // 000000007784: BF0A513C
	s_cselect_b32 s56, s56, 0                                  // 000000007788: 85388038
	s_cselect_b32 s78, s78, 0                                  // 00000000778C: 854E804E
	s_cselect_b32 s79, s79, 0                                  // 000000007790: 854F804F
	s_add_u32 s12, s56, s12                                    // 000000007794: 800C0C38
	s_addc_u32 s13, 0, s13                                     // 000000007798: 820D0D80
	s_add_u32 s16, s79, s16                                    // 00000000779C: 8010104F
	s_addc_u32 s17, 0, s17                                     // 0000000077A0: 82111180
	v_cvt_f32_i32_e32 v160, v160                               // 0000000077A4: 7F400BA0
	v_cvt_f32_i32_e32 v161, v161                               // 0000000077A8: 7F420BA1
	v_cvt_f32_i32_e32 v162, v162                               // 0000000077AC: 7F440BA2
	v_cvt_f32_i32_e32 v163, v163                               // 0000000077B0: 7F460BA3
	v_mul_f32_e32 v160, v22, v160                              // 0000000077B4: 0B414116
	v_mul_f32_e32 v161, v22, v161                              // 0000000077B8: 0B434316
	v_mul_f32_e32 v162, v22, v162                              // 0000000077BC: 0B454516
	v_mul_f32_e32 v163, v22, v163                              // 0000000077C0: 0B474716
	v_mul_f32_dpp v160, v11, v160 row_newbcast:0 row_mask:0xf bank_mask:0xf// 0000000077C4: 0B4140FA FF01500B
	v_mul_f32_dpp v161, v11, v161 row_newbcast:1 row_mask:0xf bank_mask:0xf// 0000000077CC: 0B4342FA FF01510B
	v_mul_f32_dpp v162, v11, v162 row_newbcast:2 row_mask:0xf bank_mask:0xf// 0000000077D4: 0B4544FA FF01520B
	v_mul_f32_dpp v163, v11, v163 row_newbcast:3 row_mask:0xf bank_mask:0xf// 0000000077DC: 0B4746FA FF01530B
	v_mul_f32_e32 v160, v17, v160                              // 0000000077E4: 0B414111
	v_mul_f32_e32 v161, v17, v161                              // 0000000077E8: 0B434311
	v_mul_f32_e32 v162, v17, v162                              // 0000000077EC: 0B454511
	v_mul_f32_e32 v163, v17, v163                              // 0000000077F0: 0B474711
	v_cvt_f32_i32_e32 v164, v164                               // 0000000077F4: 7F480BA4
	v_cvt_f32_i32_e32 v165, v165                               // 0000000077F8: 7F4A0BA5
	v_cvt_f32_i32_e32 v166, v166                               // 0000000077FC: 7F4C0BA6
	v_cvt_f32_i32_e32 v167, v167                               // 000000007800: 7F4E0BA7
	v_mul_f32_e32 v164, v23, v164                              // 000000007804: 0B494917
	v_mul_f32_e32 v165, v23, v165                              // 000000007808: 0B4B4B17
	v_mul_f32_e32 v166, v23, v166                              // 00000000780C: 0B4D4D17
	v_mul_f32_e32 v167, v23, v167                              // 000000007810: 0B4F4F17
	v_mul_f32_dpp v164, v11, v164 row_newbcast:0 row_mask:0xf bank_mask:0xf// 000000007814: 0B4948FA FF01500B
	v_mul_f32_dpp v165, v11, v165 row_newbcast:1 row_mask:0xf bank_mask:0xf// 00000000781C: 0B4B4AFA FF01510B
	v_mul_f32_dpp v166, v11, v166 row_newbcast:2 row_mask:0xf bank_mask:0xf// 000000007824: 0B4D4CFA FF01520B
	v_mul_f32_dpp v167, v11, v167 row_newbcast:3 row_mask:0xf bank_mask:0xf// 00000000782C: 0B4F4EFA FF01530B
	v_mul_f32_e32 v164, v18, v164                              // 000000007834: 0B494912
	v_mul_f32_e32 v165, v18, v165                              // 000000007838: 0B4B4B12
	v_mul_f32_e32 v166, v18, v166                              // 00000000783C: 0B4D4D12
	v_mul_f32_e32 v167, v18, v167                              // 000000007840: 0B4F4F12
	v_cvt_f32_i32_e32 v168, v168                               // 000000007844: 7F500BA8
	v_cvt_f32_i32_e32 v169, v169                               // 000000007848: 7F520BA9
	v_cvt_f32_i32_e32 v170, v170                               // 00000000784C: 7F540BAA
	v_cvt_f32_i32_e32 v171, v171                               // 000000007850: 7F560BAB
	v_mul_f32_e32 v168, v22, v168                              // 000000007854: 0B515116
	v_mul_f32_e32 v169, v22, v169                              // 000000007858: 0B535316
	v_mul_f32_e32 v170, v22, v170                              // 00000000785C: 0B555516
	v_mul_f32_e32 v171, v22, v171                              // 000000007860: 0B575716
	v_mul_f32_dpp v168, v11, v168 row_newbcast:4 row_mask:0xf bank_mask:0xf// 000000007864: 0B5150FA FF01540B
	v_mul_f32_dpp v169, v11, v169 row_newbcast:5 row_mask:0xf bank_mask:0xf// 00000000786C: 0B5352FA FF01550B
	v_mul_f32_dpp v170, v11, v170 row_newbcast:6 row_mask:0xf bank_mask:0xf// 000000007874: 0B5554FA FF01560B
	v_mul_f32_dpp v171, v11, v171 row_newbcast:7 row_mask:0xf bank_mask:0xf// 00000000787C: 0B5756FA FF01570B
	v_mul_f32_e32 v168, v17, v168                              // 000000007884: 0B515111
	v_mul_f32_e32 v169, v17, v169                              // 000000007888: 0B535311
	v_mul_f32_e32 v170, v17, v170                              // 00000000788C: 0B555511
	v_mul_f32_e32 v171, v17, v171                              // 000000007890: 0B575711
	v_cvt_f32_i32_e32 v172, v172                               // 000000007894: 7F580BAC
	v_cvt_f32_i32_e32 v173, v173                               // 000000007898: 7F5A0BAD
	v_cvt_f32_i32_e32 v174, v174                               // 00000000789C: 7F5C0BAE
	v_cvt_f32_i32_e32 v175, v175                               // 0000000078A0: 7F5E0BAF
	v_mul_f32_e32 v172, v23, v172                              // 0000000078A4: 0B595917
	v_mul_f32_e32 v173, v23, v173                              // 0000000078A8: 0B5B5B17
	v_mul_f32_e32 v174, v23, v174                              // 0000000078AC: 0B5D5D17
	v_mul_f32_e32 v175, v23, v175                              // 0000000078B0: 0B5F5F17
	v_mul_f32_dpp v172, v11, v172 row_newbcast:4 row_mask:0xf bank_mask:0xf// 0000000078B4: 0B5958FA FF01540B
	v_mul_f32_dpp v173, v11, v173 row_newbcast:5 row_mask:0xf bank_mask:0xf// 0000000078BC: 0B5B5AFA FF01550B
	v_mul_f32_dpp v174, v11, v174 row_newbcast:6 row_mask:0xf bank_mask:0xf// 0000000078C4: 0B5D5CFA FF01560B
	v_mul_f32_dpp v175, v11, v175 row_newbcast:7 row_mask:0xf bank_mask:0xf// 0000000078CC: 0B5F5EFA FF01570B
	v_mul_f32_e32 v172, v18, v172                              // 0000000078D4: 0B595912
	v_mul_f32_e32 v173, v18, v173                              // 0000000078D8: 0B5B5B12
	v_mul_f32_e32 v174, v18, v174                              // 0000000078DC: 0B5D5D12
	v_mul_f32_e32 v175, v18, v175                              // 0000000078E0: 0B5F5F12
	v_cvt_f32_i32_e32 v176, v176                               // 0000000078E4: 7F600BB0
	v_cvt_f32_i32_e32 v177, v177                               // 0000000078E8: 7F620BB1
	v_cvt_f32_i32_e32 v178, v178                               // 0000000078EC: 7F640BB2
	v_cvt_f32_i32_e32 v179, v179                               // 0000000078F0: 7F660BB3
	v_mul_f32_e32 v176, v22, v176                              // 0000000078F4: 0B616116
	v_mul_f32_e32 v177, v22, v177                              // 0000000078F8: 0B636316
	v_mul_f32_e32 v178, v22, v178                              // 0000000078FC: 0B656516
	v_mul_f32_e32 v179, v22, v179                              // 000000007900: 0B676716
	v_mul_f32_dpp v176, v11, v176 row_newbcast:8 row_mask:0xf bank_mask:0xf// 000000007904: 0B6160FA FF01580B
	v_mul_f32_dpp v177, v11, v177 row_newbcast:9 row_mask:0xf bank_mask:0xf// 00000000790C: 0B6362FA FF01590B
	v_mul_f32_dpp v178, v11, v178 row_newbcast:10 row_mask:0xf bank_mask:0xf// 000000007914: 0B6564FA FF015A0B
	v_mul_f32_dpp v179, v11, v179 row_newbcast:11 row_mask:0xf bank_mask:0xf// 00000000791C: 0B6766FA FF015B0B
	v_mul_f32_e32 v176, v17, v176                              // 000000007924: 0B616111
	v_mul_f32_e32 v177, v17, v177                              // 000000007928: 0B636311
	v_mul_f32_e32 v178, v17, v178                              // 00000000792C: 0B656511
	v_mul_f32_e32 v179, v17, v179                              // 000000007930: 0B676711
	v_cvt_f32_i32_e32 v180, v180                               // 000000007934: 7F680BB4
	v_cvt_f32_i32_e32 v181, v181                               // 000000007938: 7F6A0BB5
	v_cvt_f32_i32_e32 v182, v182                               // 00000000793C: 7F6C0BB6
	v_cvt_f32_i32_e32 v183, v183                               // 000000007940: 7F6E0BB7
	v_mul_f32_e32 v180, v23, v180                              // 000000007944: 0B696917
	v_mul_f32_e32 v181, v23, v181                              // 000000007948: 0B6B6B17
	v_mul_f32_e32 v182, v23, v182                              // 00000000794C: 0B6D6D17
	v_mul_f32_e32 v183, v23, v183                              // 000000007950: 0B6F6F17
	v_mul_f32_dpp v180, v11, v180 row_newbcast:8 row_mask:0xf bank_mask:0xf// 000000007954: 0B6968FA FF01580B
	v_mul_f32_dpp v181, v11, v181 row_newbcast:9 row_mask:0xf bank_mask:0xf// 00000000795C: 0B6B6AFA FF01590B
	v_mul_f32_dpp v182, v11, v182 row_newbcast:10 row_mask:0xf bank_mask:0xf// 000000007964: 0B6D6CFA FF015A0B
	v_mul_f32_dpp v183, v11, v183 row_newbcast:11 row_mask:0xf bank_mask:0xf// 00000000796C: 0B6F6EFA FF015B0B
	v_mul_f32_e32 v180, v18, v180                              // 000000007974: 0B696912
	v_mul_f32_e32 v181, v18, v181                              // 000000007978: 0B6B6B12
	v_mul_f32_e32 v182, v18, v182                              // 00000000797C: 0B6D6D12
	v_mul_f32_e32 v183, v18, v183                              // 000000007980: 0B6F6F12
	v_cvt_f32_i32_e32 v184, v184                               // 000000007984: 7F700BB8
	v_cvt_f32_i32_e32 v185, v185                               // 000000007988: 7F720BB9
	v_cvt_f32_i32_e32 v186, v186                               // 00000000798C: 7F740BBA
	v_cvt_f32_i32_e32 v187, v187                               // 000000007990: 7F760BBB
	v_mul_f32_e32 v184, v22, v184                              // 000000007994: 0B717116
	v_mul_f32_e32 v185, v22, v185                              // 000000007998: 0B737316
	v_mul_f32_e32 v186, v22, v186                              // 00000000799C: 0B757516
	v_mul_f32_e32 v187, v22, v187                              // 0000000079A0: 0B777716
	v_mul_f32_dpp v184, v11, v184 row_newbcast:12 row_mask:0xf bank_mask:0xf// 0000000079A4: 0B7170FA FF015C0B
	v_mul_f32_dpp v185, v11, v185 row_newbcast:13 row_mask:0xf bank_mask:0xf// 0000000079AC: 0B7372FA FF015D0B
	v_mul_f32_dpp v186, v11, v186 row_newbcast:14 row_mask:0xf bank_mask:0xf// 0000000079B4: 0B7574FA FF015E0B
	v_mul_f32_dpp v187, v11, v187 row_newbcast:15 row_mask:0xf bank_mask:0xf// 0000000079BC: 0B7776FA FF015F0B
	v_mul_f32_e32 v184, v17, v184                              // 0000000079C4: 0B717111
	v_mul_f32_e32 v185, v17, v185                              // 0000000079C8: 0B737311
	v_mul_f32_e32 v186, v17, v186                              // 0000000079CC: 0B757511
	v_mul_f32_e32 v187, v17, v187                              // 0000000079D0: 0B777711
	v_cvt_f32_i32_e32 v188, v188                               // 0000000079D4: 7F780BBC
	v_cvt_f32_i32_e32 v189, v189                               // 0000000079D8: 7F7A0BBD
	v_cvt_f32_i32_e32 v190, v190                               // 0000000079DC: 7F7C0BBE
	v_cvt_f32_i32_e32 v191, v191                               // 0000000079E0: 7F7E0BBF
	v_mul_f32_e32 v188, v23, v188                              // 0000000079E4: 0B797917
	v_mul_f32_e32 v189, v23, v189                              // 0000000079E8: 0B7B7B17
	v_mul_f32_e32 v190, v23, v190                              // 0000000079EC: 0B7D7D17
	v_mul_f32_e32 v191, v23, v191                              // 0000000079F0: 0B7F7F17
	v_mul_f32_dpp v188, v11, v188 row_newbcast:12 row_mask:0xf bank_mask:0xf// 0000000079F4: 0B7978FA FF015C0B
	v_mul_f32_dpp v189, v11, v189 row_newbcast:13 row_mask:0xf bank_mask:0xf// 0000000079FC: 0B7B7AFA FF015D0B
	v_mul_f32_dpp v190, v11, v190 row_newbcast:14 row_mask:0xf bank_mask:0xf// 000000007A04: 0B7D7CFA FF015E0B
	v_mul_f32_dpp v191, v11, v191 row_newbcast:15 row_mask:0xf bank_mask:0xf// 000000007A0C: 0B7F7EFA FF015F0B
	v_mul_f32_e32 v188, v18, v188                              // 000000007A14: 0B797912
	v_mul_f32_e32 v189, v18, v189                              // 000000007A18: 0B7B7B12
	v_mul_f32_e32 v190, v18, v190                              // 000000007A1C: 0B7D7D12
	v_mul_f32_e32 v191, v18, v191                              // 000000007A20: 0B7F7F12
	v_cmp_u_f32_e64 s[48:49], v160, v160                       // 000000007A24: D0480030 000341A0
	v_add3_u32 v40, v160, v43, 1                               // 000000007A2C: D1FF0028 020657A0
	v_cndmask_b32_e64 v44, v40, v42, s[48:49]                  // 000000007A34: D100002C 00C25528
	v_cmp_u_f32_e64 s[48:49], v161, v161                       // 000000007A3C: D0480030 000343A1
	v_add3_u32 v40, v161, v43, 1                               // 000000007A44: D1FF0028 020657A1
	v_cndmask_b32_e64 v45, v40, v42, s[48:49]                  // 000000007A4C: D100002D 00C25528
	v_perm_b32 v160, v45, v44, s52                             // 000000007A54: D1ED00A0 00D2592D
	v_cmp_u_f32_e64 s[48:49], v162, v162                       // 000000007A5C: D0480030 000345A2
	v_add3_u32 v40, v162, v43, 1                               // 000000007A64: D1FF0028 020657A2
	v_cndmask_b32_e64 v44, v40, v42, s[48:49]                  // 000000007A6C: D100002C 00C25528
	v_cmp_u_f32_e64 s[48:49], v163, v163                       // 000000007A74: D0480030 000347A3
	v_add3_u32 v40, v163, v43, 1                               // 000000007A7C: D1FF0028 020657A3
	v_cndmask_b32_e64 v45, v40, v42, s[48:49]                  // 000000007A84: D100002D 00C25528
	v_perm_b32 v161, v45, v44, s52                             // 000000007A8C: D1ED00A1 00D2592D
	v_cmp_u_f32_e64 s[48:49], v164, v164                       // 000000007A94: D0480030 000349A4
	v_add3_u32 v40, v164, v43, 1                               // 000000007A9C: D1FF0028 020657A4
	v_cndmask_b32_e64 v44, v40, v42, s[48:49]                  // 000000007AA4: D100002C 00C25528
	v_cmp_u_f32_e64 s[48:49], v165, v165                       // 000000007AAC: D0480030 00034BA5
	v_add3_u32 v40, v165, v43, 1                               // 000000007AB4: D1FF0028 020657A5
	v_cndmask_b32_e64 v45, v40, v42, s[48:49]                  // 000000007ABC: D100002D 00C25528
	v_perm_b32 v162, v45, v44, s52                             // 000000007AC4: D1ED00A2 00D2592D
	v_cmp_u_f32_e64 s[48:49], v166, v166                       // 000000007ACC: D0480030 00034DA6
	v_add3_u32 v40, v166, v43, 1                               // 000000007AD4: D1FF0028 020657A6
	v_cndmask_b32_e64 v44, v40, v42, s[48:49]                  // 000000007ADC: D100002C 00C25528
	v_cmp_u_f32_e64 s[48:49], v167, v167                       // 000000007AE4: D0480030 00034FA7
	v_add3_u32 v40, v167, v43, 1                               // 000000007AEC: D1FF0028 020657A7
	v_cndmask_b32_e64 v45, v40, v42, s[48:49]                  // 000000007AF4: D100002D 00C25528
	v_perm_b32 v163, v45, v44, s52                             // 000000007AFC: D1ED00A3 00D2592D
	v_cmp_u_f32_e64 s[48:49], v168, v168                       // 000000007B04: D0480030 000351A8
	v_add3_u32 v40, v168, v43, 1                               // 000000007B0C: D1FF0028 020657A8
	v_cndmask_b32_e64 v44, v40, v42, s[48:49]                  // 000000007B14: D100002C 00C25528
	v_cmp_u_f32_e64 s[48:49], v169, v169                       // 000000007B1C: D0480030 000353A9
	v_add3_u32 v40, v169, v43, 1                               // 000000007B24: D1FF0028 020657A9
	v_cndmask_b32_e64 v45, v40, v42, s[48:49]                  // 000000007B2C: D100002D 00C25528
	v_perm_b32 v164, v45, v44, s52                             // 000000007B34: D1ED00A4 00D2592D
	v_cmp_u_f32_e64 s[48:49], v170, v170                       // 000000007B3C: D0480030 000355AA
	v_add3_u32 v40, v170, v43, 1                               // 000000007B44: D1FF0028 020657AA
	v_cndmask_b32_e64 v44, v40, v42, s[48:49]                  // 000000007B4C: D100002C 00C25528
	v_cmp_u_f32_e64 s[48:49], v171, v171                       // 000000007B54: D0480030 000357AB
	v_add3_u32 v40, v171, v43, 1                               // 000000007B5C: D1FF0028 020657AB
	v_cndmask_b32_e64 v45, v40, v42, s[48:49]                  // 000000007B64: D100002D 00C25528
	v_perm_b32 v165, v45, v44, s52                             // 000000007B6C: D1ED00A5 00D2592D
	v_cmp_u_f32_e64 s[48:49], v172, v172                       // 000000007B74: D0480030 000359AC
	v_add3_u32 v40, v172, v43, 1                               // 000000007B7C: D1FF0028 020657AC
	v_cndmask_b32_e64 v44, v40, v42, s[48:49]                  // 000000007B84: D100002C 00C25528
	v_cmp_u_f32_e64 s[48:49], v173, v173                       // 000000007B8C: D0480030 00035BAD
	v_add3_u32 v40, v173, v43, 1                               // 000000007B94: D1FF0028 020657AD
	v_cndmask_b32_e64 v45, v40, v42, s[48:49]                  // 000000007B9C: D100002D 00C25528
	v_perm_b32 v166, v45, v44, s52                             // 000000007BA4: D1ED00A6 00D2592D
	v_cmp_u_f32_e64 s[48:49], v174, v174                       // 000000007BAC: D0480030 00035DAE
	v_add3_u32 v40, v174, v43, 1                               // 000000007BB4: D1FF0028 020657AE
	v_cndmask_b32_e64 v44, v40, v42, s[48:49]                  // 000000007BBC: D100002C 00C25528
	v_cmp_u_f32_e64 s[48:49], v175, v175                       // 000000007BC4: D0480030 00035FAF
	v_add3_u32 v40, v175, v43, 1                               // 000000007BCC: D1FF0028 020657AF
	v_cndmask_b32_e64 v45, v40, v42, s[48:49]                  // 000000007BD4: D100002D 00C25528
	v_perm_b32 v167, v45, v44, s52                             // 000000007BDC: D1ED00A7 00D2592D
	v_cmp_u_f32_e64 s[48:49], v176, v176                       // 000000007BE4: D0480030 000361B0
	v_add3_u32 v40, v176, v43, 1                               // 000000007BEC: D1FF0028 020657B0
	v_cndmask_b32_e64 v44, v40, v42, s[48:49]                  // 000000007BF4: D100002C 00C25528
	v_cmp_u_f32_e64 s[48:49], v177, v177                       // 000000007BFC: D0480030 000363B1
	v_add3_u32 v40, v177, v43, 1                               // 000000007C04: D1FF0028 020657B1
	v_cndmask_b32_e64 v45, v40, v42, s[48:49]                  // 000000007C0C: D100002D 00C25528
	v_perm_b32 v168, v45, v44, s52                             // 000000007C14: D1ED00A8 00D2592D
	v_cmp_u_f32_e64 s[48:49], v178, v178                       // 000000007C1C: D0480030 000365B2
	v_add3_u32 v40, v178, v43, 1                               // 000000007C24: D1FF0028 020657B2
	v_cndmask_b32_e64 v44, v40, v42, s[48:49]                  // 000000007C2C: D100002C 00C25528
	v_cmp_u_f32_e64 s[48:49], v179, v179                       // 000000007C34: D0480030 000367B3
	v_add3_u32 v40, v179, v43, 1                               // 000000007C3C: D1FF0028 020657B3
	v_cndmask_b32_e64 v45, v40, v42, s[48:49]                  // 000000007C44: D100002D 00C25528
	v_perm_b32 v169, v45, v44, s52                             // 000000007C4C: D1ED00A9 00D2592D
	v_cmp_u_f32_e64 s[48:49], v180, v180                       // 000000007C54: D0480030 000369B4
	v_add3_u32 v40, v180, v43, 1                               // 000000007C5C: D1FF0028 020657B4
	v_cndmask_b32_e64 v44, v40, v42, s[48:49]                  // 000000007C64: D100002C 00C25528
	v_cmp_u_f32_e64 s[48:49], v181, v181                       // 000000007C6C: D0480030 00036BB5
	v_add3_u32 v40, v181, v43, 1                               // 000000007C74: D1FF0028 020657B5
	v_cndmask_b32_e64 v45, v40, v42, s[48:49]                  // 000000007C7C: D100002D 00C25528
	v_perm_b32 v170, v45, v44, s52                             // 000000007C84: D1ED00AA 00D2592D
	v_cmp_u_f32_e64 s[48:49], v182, v182                       // 000000007C8C: D0480030 00036DB6
	v_add3_u32 v40, v182, v43, 1                               // 000000007C94: D1FF0028 020657B6
	v_cndmask_b32_e64 v44, v40, v42, s[48:49]                  // 000000007C9C: D100002C 00C25528
	v_cmp_u_f32_e64 s[48:49], v183, v183                       // 000000007CA4: D0480030 00036FB7
	v_add3_u32 v40, v183, v43, 1                               // 000000007CAC: D1FF0028 020657B7
	v_cndmask_b32_e64 v45, v40, v42, s[48:49]                  // 000000007CB4: D100002D 00C25528
	v_perm_b32 v171, v45, v44, s52                             // 000000007CBC: D1ED00AB 00D2592D
	v_cmp_u_f32_e64 s[48:49], v184, v184                       // 000000007CC4: D0480030 000371B8
	v_add3_u32 v40, v184, v43, 1                               // 000000007CCC: D1FF0028 020657B8
	v_cndmask_b32_e64 v44, v40, v42, s[48:49]                  // 000000007CD4: D100002C 00C25528
	v_cmp_u_f32_e64 s[48:49], v185, v185                       // 000000007CDC: D0480030 000373B9
	v_add3_u32 v40, v185, v43, 1                               // 000000007CE4: D1FF0028 020657B9
	v_cndmask_b32_e64 v45, v40, v42, s[48:49]                  // 000000007CEC: D100002D 00C25528
	v_perm_b32 v172, v45, v44, s52                             // 000000007CF4: D1ED00AC 00D2592D
	v_cmp_u_f32_e64 s[48:49], v186, v186                       // 000000007CFC: D0480030 000375BA
	v_add3_u32 v40, v186, v43, 1                               // 000000007D04: D1FF0028 020657BA
	v_cndmask_b32_e64 v44, v40, v42, s[48:49]                  // 000000007D0C: D100002C 00C25528
	v_cmp_u_f32_e64 s[48:49], v187, v187                       // 000000007D14: D0480030 000377BB
	v_add3_u32 v40, v187, v43, 1                               // 000000007D1C: D1FF0028 020657BB
	v_cndmask_b32_e64 v45, v40, v42, s[48:49]                  // 000000007D24: D100002D 00C25528
	v_perm_b32 v173, v45, v44, s52                             // 000000007D2C: D1ED00AD 00D2592D
	v_cmp_u_f32_e64 s[48:49], v188, v188                       // 000000007D34: D0480030 000379BC
	v_add3_u32 v40, v188, v43, 1                               // 000000007D3C: D1FF0028 020657BC
	v_cndmask_b32_e64 v44, v40, v42, s[48:49]                  // 000000007D44: D100002C 00C25528
	v_cmp_u_f32_e64 s[48:49], v189, v189                       // 000000007D4C: D0480030 00037BBD
	v_add3_u32 v40, v189, v43, 1                               // 000000007D54: D1FF0028 020657BD
	v_cndmask_b32_e64 v45, v40, v42, s[48:49]                  // 000000007D5C: D100002D 00C25528
	v_perm_b32 v174, v45, v44, s52                             // 000000007D64: D1ED00AE 00D2592D
	v_cmp_u_f32_e64 s[48:49], v190, v190                       // 000000007D6C: D0480030 00037DBE
	v_add3_u32 v40, v190, v43, 1                               // 000000007D74: D1FF0028 020657BE
	v_cndmask_b32_e64 v44, v40, v42, s[48:49]                  // 000000007D7C: D100002C 00C25528
	v_cmp_u_f32_e64 s[48:49], v191, v191                       // 000000007D84: D0480030 00037FBF
	v_add3_u32 v40, v191, v43, 1                               // 000000007D8C: D1FF0028 020657BF
	v_cndmask_b32_e64 v45, v40, v42, s[48:49]                  // 000000007D94: D100002D 00C25528
	v_perm_b32 v175, v45, v44, s52                             // 000000007D9C: D1ED00AF 00D2592D
	ds_write_b64 v3, v[160:161] offset:26880                   // 000000007DA4: D89A6900 0000A003
	ds_write_b64 v3, v[162:163] offset:35584                   // 000000007DAC: D89A8B00 0000A203
	ds_write_b64 v3, v[164:165] offset:29056                   // 000000007DB4: D89A7180 0000A403
	ds_write_b64 v3, v[166:167] offset:37760                   // 000000007DBC: D89A9380 0000A603
	ds_write_b64 v3, v[168:169] offset:31232                   // 000000007DC4: D89A7A00 0000A803
	ds_write_b64 v3, v[170:171] offset:39936                   // 000000007DCC: D89A9C00 0000AA03
	ds_write_b64 v3, v[172:173] offset:33408                   // 000000007DD4: D89A8280 0000AC03
	ds_write_b64 v3, v[174:175] offset:42112                   // 000000007DDC: D89AA480 0000AE03
	s_waitcnt lgkmcnt(0)                                       // 000000007DE4: BF8CC07F
	s_barrier                                                  // 000000007DE8: BF8A0000
	ds_read_b32 v64, v4 offset:26880                           // 000000007DEC: D86C6900 40000004
	ds_read_b32 v65, v4 offset:31232                           // 000000007DF4: D86C7A00 41000004
	ds_read_b32 v66, v4 offset:26912                           // 000000007DFC: D86C6920 42000004
	ds_read_b32 v67, v4 offset:31264                           // 000000007E04: D86C7A20 43000004
	ds_read_b32 v68, v4 offset:26944                           // 000000007E0C: D86C6940 44000004
	ds_read_b32 v69, v4 offset:31296                           // 000000007E14: D86C7A40 45000004
	ds_read_b32 v70, v4 offset:26976                           // 000000007E1C: D86C6960 46000004
	ds_read_b32 v71, v4 offset:31328                           // 000000007E24: D86C7A60 47000004
	ds_read_b32 v72, v4 offset:35584                           // 000000007E2C: D86C8B00 48000004
	ds_read_b32 v73, v4 offset:39936                           // 000000007E34: D86C9C00 49000004
	ds_read_b32 v74, v4 offset:35616                           // 000000007E3C: D86C8B20 4A000004
	ds_read_b32 v75, v4 offset:39968                           // 000000007E44: D86C9C20 4B000004
	ds_read_b32 v76, v4 offset:35648                           // 000000007E4C: D86C8B40 4C000004
	ds_read_b32 v77, v4 offset:40000                           // 000000007E54: D86C9C40 4D000004
	ds_read_b32 v78, v4 offset:35680                           // 000000007E5C: D86C8B60 4E000004
	ds_read_b32 v79, v4 offset:40032                           // 000000007E64: D86C9C60 4F000004
	s_waitcnt lgkmcnt(0)                                       // 000000007E6C: BF8CC07F
	s_mov_b64 exec, s[20:21]                                   // 000000007E70: BEFE0114
	global_atomic_pk_add_bf16 v80, v64, s[8:9]                 // 000000007E74: DD488000 00084050
	s_mov_b64 exec, s[36:37]                                   // 000000007E7C: BEFE0124
	s_mov_b64 exec, s[20:21]                                   // 000000007E80: BEFE0114
	global_atomic_pk_add_bf16 v80, v65, s[8:9] offset:256      // 000000007E84: DD488100 00084150
	s_mov_b64 exec, s[36:37]                                   // 000000007E8C: BEFE0124
	s_mov_b64 exec, s[22:23]                                   // 000000007E90: BEFE0116
	global_atomic_pk_add_bf16 v82, v66, s[8:9]                 // 000000007E94: DD488000 00084252
	s_mov_b64 exec, s[36:37]                                   // 000000007E9C: BEFE0124
	s_mov_b64 exec, s[22:23]                                   // 000000007EA0: BEFE0116
	global_atomic_pk_add_bf16 v82, v67, s[8:9] offset:256      // 000000007EA4: DD488100 00084352
	s_mov_b64 exec, s[36:37]                                   // 000000007EAC: BEFE0124
	s_mov_b64 exec, s[24:25]                                   // 000000007EB0: BEFE0118
	global_atomic_pk_add_bf16 v84, v68, s[8:9]                 // 000000007EB4: DD488000 00084454
	s_mov_b64 exec, s[36:37]                                   // 000000007EBC: BEFE0124
	s_mov_b64 exec, s[24:25]                                   // 000000007EC0: BEFE0118
	global_atomic_pk_add_bf16 v84, v69, s[8:9] offset:256      // 000000007EC4: DD488100 00084554
	s_mov_b64 exec, s[36:37]                                   // 000000007ECC: BEFE0124
	s_mov_b64 exec, s[26:27]                                   // 000000007ED0: BEFE011A
	global_atomic_pk_add_bf16 v86, v70, s[8:9]                 // 000000007ED4: DD488000 00084656
	s_mov_b64 exec, s[36:37]                                   // 000000007EDC: BEFE0124
	s_mov_b64 exec, s[26:27]                                   // 000000007EE0: BEFE011A
	global_atomic_pk_add_bf16 v86, v71, s[8:9] offset:256      // 000000007EE4: DD488100 00084756
	s_mov_b64 exec, s[36:37]                                   // 000000007EEC: BEFE0124
	s_mov_b64 exec, s[28:29]                                   // 000000007EF0: BEFE011C
	global_atomic_pk_add_bf16 v88, v72, s[8:9]                 // 000000007EF4: DD488000 00084858
	s_mov_b64 exec, s[36:37]                                   // 000000007EFC: BEFE0124
	s_mov_b64 exec, s[28:29]                                   // 000000007F00: BEFE011C
	global_atomic_pk_add_bf16 v88, v73, s[8:9] offset:256      // 000000007F04: DD488100 00084958
	s_mov_b64 exec, s[36:37]                                   // 000000007F0C: BEFE0124
	s_mov_b64 exec, s[30:31]                                   // 000000007F10: BEFE011E
	global_atomic_pk_add_bf16 v90, v74, s[8:9]                 // 000000007F14: DD488000 00084A5A
	s_mov_b64 exec, s[36:37]                                   // 000000007F1C: BEFE0124
	s_mov_b64 exec, s[30:31]                                   // 000000007F20: BEFE011E
	global_atomic_pk_add_bf16 v90, v75, s[8:9] offset:256      // 000000007F24: DD488100 00084B5A
	s_mov_b64 exec, s[36:37]                                   // 000000007F2C: BEFE0124
	s_mov_b64 exec, s[32:33]                                   // 000000007F30: BEFE0120
	global_atomic_pk_add_bf16 v92, v76, s[8:9]                 // 000000007F34: DD488000 00084C5C
	s_mov_b64 exec, s[36:37]                                   // 000000007F3C: BEFE0124
	s_mov_b64 exec, s[32:33]                                   // 000000007F40: BEFE0120
	global_atomic_pk_add_bf16 v92, v77, s[8:9] offset:256      // 000000007F44: DD488100 00084D5C
	s_mov_b64 exec, s[36:37]                                   // 000000007F4C: BEFE0124
	s_mov_b64 exec, s[34:35]                                   // 000000007F50: BEFE0122
	global_atomic_pk_add_bf16 v94, v78, s[8:9]                 // 000000007F54: DD488000 00084E5E
	s_mov_b64 exec, s[36:37]                                   // 000000007F5C: BEFE0124
	s_mov_b64 exec, s[34:35]                                   // 000000007F60: BEFE0122
	global_atomic_pk_add_bf16 v94, v79, s[8:9] offset:256      // 000000007F64: DD488100 00084F5E
	s_mov_b64 exec, s[36:37]                                   // 000000007F6C: BEFE0124
	s_add_u32 s8, s59, s8                                      // 000000007F70: 8008083B
	s_addc_u32 s9, 0, s9                                       // 000000007F74: 82090980
	s_addk_i32 s80, 0x100                                      // 000000007F78: B7500100
	s_cmp_lt_i32 s80, s81                                      // 000000007F7C: BF045150
	s_cbranch_scc0 label_0D19                                  // 000000007F80: BF84F7F8
	s_waitcnt vmcnt(29)                                        // 000000007F84: BF8C4F7D
	s_barrier                                                  // 000000007F88: BF8A0000
	v_mfma_i32_16x16x32_i8 v[192:195], a[64:65], v[128:129], 0 // 000000007F8C: D3D700C0 0A030140
	buffer_load_dwordx4 a[0:3], v36, s[12:15], 0 offen         // 000000007F94: E05C1000 80830024
	v_mfma_i32_16x16x32_i8 v[192:195], a[66:67], v[130:131], v[192:195]// 000000007F9C: D3D700C0 0F030542
	v_mfma_i32_16x16x32_i8 v[196:199], a[64:65], v[144:145], 0 // 000000007FA4: D3D700C4 0A032140
	v_mfma_i32_16x16x32_i8 v[196:199], a[66:67], v[146:147], v[196:199]// 000000007FAC: D3D700C4 0F132542
	v_mfma_i32_16x16x32_i8 v[200:203], a[68:69], v[128:129], 0 // 000000007FB4: D3D700C8 0A030144
	buffer_load_dwordx4 a[4:7], v37, s[12:15], 0 offen         // 000000007FBC: E05C1000 80830425
	v_mfma_i32_16x16x32_i8 v[200:203], a[70:71], v[130:131], v[200:203]// 000000007FC4: D3D700C8 0F230546
	v_mfma_i32_16x16x32_i8 v[204:207], a[68:69], v[144:145], 0 // 000000007FCC: D3D700CC 0A032144
	v_mfma_i32_16x16x32_i8 v[204:207], a[70:71], v[146:147], v[204:207]// 000000007FD4: D3D700CC 0F332546
	v_mfma_i32_16x16x32_i8 v[208:211], a[72:73], v[128:129], 0 // 000000007FDC: D3D700D0 0A030148
	buffer_load_dwordx4 a[8:11], v38, s[12:15], 0 offen        // 000000007FE4: E05C1000 80830826
	v_mfma_i32_16x16x32_i8 v[208:211], a[74:75], v[130:131], v[208:211]// 000000007FEC: D3D700D0 0F43054A
	v_mfma_i32_16x16x32_i8 v[212:215], a[72:73], v[144:145], 0 // 000000007FF4: D3D700D4 0A032148
	v_mfma_i32_16x16x32_i8 v[212:215], a[74:75], v[146:147], v[212:215]// 000000007FFC: D3D700D4 0F53254A
	v_mfma_i32_16x16x32_i8 v[216:219], a[76:77], v[128:129], 0 // 000000008004: D3D700D8 0A03014C
	buffer_load_dwordx4 a[12:15], v39, s[12:15], 0 offen       // 00000000800C: E05C1000 80830C27
	s_add_u32 s12, s78, s12                                    // 000000008014: 800C0C4E
	s_addc_u32 s13, 0, s13                                     // 000000008018: 820D0D80
	v_mfma_i32_16x16x32_i8 v[216:219], a[78:79], v[130:131], v[216:219]// 00000000801C: D3D700D8 0F63054E
	v_mfma_i32_16x16x32_i8 v[220:223], a[76:77], v[144:145], 0 // 000000008024: D3D700DC 0A03214C
	v_mfma_i32_16x16x32_i8 v[220:223], a[78:79], v[146:147], v[220:223]// 00000000802C: D3D700DC 0F73254E
	s_waitcnt vmcnt(29)                                        // 000000008034: BF8C4F7D
	v_mfma_i32_16x16x32_i8 v[192:195], a[80:81], v[132:133], v[192:195]// 000000008038: D3D700C0 0F030950
	buffer_load_dwordx4 a[16:19], v36, s[12:15], 0 offen       // 000000008040: E05C1000 80831024
	v_mfma_i32_16x16x32_i8 v[192:195], a[82:83], v[134:135], v[192:195]// 000000008048: D3D700C0 0F030D52
	v_mfma_i32_16x16x32_i8 v[196:199], a[80:81], v[148:149], v[196:199]// 000000008050: D3D700C4 0F132950
	v_mfma_i32_16x16x32_i8 v[196:199], a[82:83], v[150:151], v[196:199]// 000000008058: D3D700C4 0F132D52
	v_mfma_i32_16x16x32_i8 v[200:203], a[84:85], v[132:133], v[200:203]// 000000008060: D3D700C8 0F230954
	buffer_load_dwordx4 a[20:23], v37, s[12:15], 0 offen       // 000000008068: E05C1000 80831425
	v_mfma_i32_16x16x32_i8 v[200:203], a[86:87], v[134:135], v[200:203]// 000000008070: D3D700C8 0F230D56
	v_mfma_i32_16x16x32_i8 v[204:207], a[84:85], v[148:149], v[204:207]// 000000008078: D3D700CC 0F332954
	v_mfma_i32_16x16x32_i8 v[204:207], a[86:87], v[150:151], v[204:207]// 000000008080: D3D700CC 0F332D56
	v_mfma_i32_16x16x32_i8 v[208:211], a[88:89], v[132:133], v[208:211]// 000000008088: D3D700D0 0F430958
	buffer_load_dwordx4 a[24:27], v38, s[12:15], 0 offen       // 000000008090: E05C1000 80831826
	v_mfma_i32_16x16x32_i8 v[208:211], a[90:91], v[134:135], v[208:211]// 000000008098: D3D700D0 0F430D5A
	v_mfma_i32_16x16x32_i8 v[212:215], a[88:89], v[148:149], v[212:215]// 0000000080A0: D3D700D4 0F532958
	v_mfma_i32_16x16x32_i8 v[212:215], a[90:91], v[150:151], v[212:215]// 0000000080A8: D3D700D4 0F532D5A
	v_mfma_i32_16x16x32_i8 v[216:219], a[92:93], v[132:133], v[216:219]// 0000000080B0: D3D700D8 0F63095C
	buffer_load_dwordx4 a[28:31], v39, s[12:15], 0 offen       // 0000000080B8: E05C1000 80831C27
	s_add_u32 s12, s78, s12                                    // 0000000080C0: 800C0C4E
	s_addc_u32 s13, 0, s13                                     // 0000000080C4: 820D0D80
	v_mfma_i32_16x16x32_i8 v[216:219], a[94:95], v[134:135], v[216:219]// 0000000080C8: D3D700D8 0F630D5E
	v_mfma_i32_16x16x32_i8 v[220:223], a[92:93], v[148:149], v[220:223]// 0000000080D0: D3D700DC 0F73295C
	v_mfma_i32_16x16x32_i8 v[220:223], a[94:95], v[150:151], v[220:223]// 0000000080D8: D3D700DC 0F732D5E
	s_waitcnt vmcnt(29)                                        // 0000000080E0: BF8C4F7D
	v_mfma_i32_16x16x32_i8 v[192:195], a[96:97], v[136:137], v[192:195]// 0000000080E4: D3D700C0 0F031160
	buffer_load_dwordx4 a[32:35], v36, s[12:15], 0 offen       // 0000000080EC: E05C1000 80832024
	v_mfma_i32_16x16x32_i8 v[192:195], a[98:99], v[138:139], v[192:195]// 0000000080F4: D3D700C0 0F031562
	v_mfma_i32_16x16x32_i8 v[196:199], a[96:97], v[152:153], v[196:199]// 0000000080FC: D3D700C4 0F133160
	v_mfma_i32_16x16x32_i8 v[196:199], a[98:99], v[154:155], v[196:199]// 000000008104: D3D700C4 0F133562
	v_mfma_i32_16x16x32_i8 v[200:203], a[100:101], v[136:137], v[200:203]// 00000000810C: D3D700C8 0F231164
	buffer_load_dwordx4 a[36:39], v37, s[12:15], 0 offen       // 000000008114: E05C1000 80832425
	v_mfma_i32_16x16x32_i8 v[200:203], a[102:103], v[138:139], v[200:203]// 00000000811C: D3D700C8 0F231566
	v_mfma_i32_16x16x32_i8 v[204:207], a[100:101], v[152:153], v[204:207]// 000000008124: D3D700CC 0F333164
	v_mfma_i32_16x16x32_i8 v[204:207], a[102:103], v[154:155], v[204:207]// 00000000812C: D3D700CC 0F333566
	v_mfma_i32_16x16x32_i8 v[208:211], a[104:105], v[136:137], v[208:211]// 000000008134: D3D700D0 0F431168
	buffer_load_dwordx4 a[40:43], v38, s[12:15], 0 offen       // 00000000813C: E05C1000 80832826
	v_mfma_i32_16x16x32_i8 v[208:211], a[106:107], v[138:139], v[208:211]// 000000008144: D3D700D0 0F43156A
	v_mfma_i32_16x16x32_i8 v[212:215], a[104:105], v[152:153], v[212:215]// 00000000814C: D3D700D4 0F533168
	v_mfma_i32_16x16x32_i8 v[212:215], a[106:107], v[154:155], v[212:215]// 000000008154: D3D700D4 0F53356A
	v_mfma_i32_16x16x32_i8 v[216:219], a[108:109], v[136:137], v[216:219]// 00000000815C: D3D700D8 0F63116C
	buffer_load_dwordx4 a[44:47], v39, s[12:15], 0 offen       // 000000008164: E05C1000 80832C27
	s_add_u32 s12, s78, s12                                    // 00000000816C: 800C0C4E
	s_addc_u32 s13, 0, s13                                     // 000000008170: 820D0D80
	v_mfma_i32_16x16x32_i8 v[216:219], a[110:111], v[138:139], v[216:219]// 000000008174: D3D700D8 0F63156E
	v_mfma_i32_16x16x32_i8 v[220:223], a[108:109], v[152:153], v[220:223]// 00000000817C: D3D700DC 0F73316C
	v_mfma_i32_16x16x32_i8 v[220:223], a[110:111], v[154:155], v[220:223]// 000000008184: D3D700DC 0F73356E
	s_waitcnt vmcnt(28)                                        // 00000000818C: BF8C4F7C
	v_mfma_i32_16x16x32_i8 v[192:195], a[112:113], v[140:141], v[192:195]// 000000008190: D3D700C0 0F031970
	buffer_load_dwordx4 a[48:51], v36, s[12:15], 0 offen       // 000000008198: E05C1000 80833024
	v_mfma_i32_16x16x32_i8 v[192:195], a[114:115], v[142:143], v[192:195]// 0000000081A0: D3D700C0 0F031D72
	v_mfma_i32_16x16x32_i8 v[196:199], a[112:113], v[156:157], v[196:199]// 0000000081A8: D3D700C4 0F133970
	buffer_load_dword v11, v5, s[16:19], 0 offen               // 0000000081B0: E0501000 80040B05
	v_mfma_i32_16x16x32_i8 v[196:199], a[114:115], v[158:159], v[196:199]// 0000000081B8: D3D700C4 0F133D72
	v_mfma_i32_16x16x32_i8 v[200:203], a[116:117], v[140:141], v[200:203]// 0000000081C0: D3D700C8 0F231974
	buffer_load_dwordx4 a[52:55], v37, s[12:15], 0 offen       // 0000000081C8: E05C1000 80833425
	v_mfma_i32_16x16x32_i8 v[200:203], a[118:119], v[142:143], v[200:203]// 0000000081D0: D3D700C8 0F231D76
	v_mfma_i32_16x16x32_i8 v[204:207], a[116:117], v[156:157], v[204:207]// 0000000081D8: D3D700CC 0F333974
	v_mfma_i32_16x16x32_i8 v[204:207], a[118:119], v[158:159], v[204:207]// 0000000081E0: D3D700CC 0F333D76
	v_mfma_i32_16x16x32_i8 v[208:211], a[120:121], v[140:141], v[208:211]// 0000000081E8: D3D700D0 0F431978
	buffer_load_dwordx4 a[56:59], v38, s[12:15], 0 offen       // 0000000081F0: E05C1000 80833826
	v_mfma_i32_16x16x32_i8 v[208:211], a[122:123], v[142:143], v[208:211]// 0000000081F8: D3D700D0 0F431D7A
	v_mfma_i32_16x16x32_i8 v[212:215], a[120:121], v[156:157], v[212:215]// 000000008200: D3D700D4 0F533978
	v_mfma_i32_16x16x32_i8 v[212:215], a[122:123], v[158:159], v[212:215]// 000000008208: D3D700D4 0F533D7A
	v_mfma_i32_16x16x32_i8 v[216:219], a[124:125], v[140:141], v[216:219]// 000000008210: D3D700D8 0F63197C
	buffer_load_dwordx4 a[60:63], v39, s[12:15], 0 offen       // 000000008218: E05C1000 80833C27
	v_mfma_i32_16x16x32_i8 v[216:219], a[126:127], v[142:143], v[216:219]// 000000008220: D3D700D8 0F631D7E
	v_mfma_i32_16x16x32_i8 v[220:223], a[124:125], v[156:157], v[220:223]// 000000008228: D3D700DC 0F73397C
	v_mfma_i32_16x16x32_i8 v[220:223], a[126:127], v[158:159], v[220:223]// 000000008230: D3D700DC 0F733D7E
	s_add_u32 s60, 0x200, s80                                  // 000000008238: 803C50FF 00000200
	s_cmp_lt_u32 s60, s81                                      // 000000008240: BF0A513C
	s_cselect_b32 s56, s56, 0                                  // 000000008244: 85388038
	s_cselect_b32 s78, s78, 0                                  // 000000008248: 854E804E
	s_cselect_b32 s79, s79, 0                                  // 00000000824C: 854F804F
	s_add_u32 s12, s56, s12                                    // 000000008250: 800C0C38
	s_addc_u32 s13, 0, s13                                     // 000000008254: 820D0D80
	s_add_u32 s16, s79, s16                                    // 000000008258: 8010104F
	s_addc_u32 s17, 0, s17                                     // 00000000825C: 82111180
	v_cvt_f32_i32_e32 v192, v192                               // 000000008260: 7F800BC0
	v_cvt_f32_i32_e32 v193, v193                               // 000000008264: 7F820BC1
	v_cvt_f32_i32_e32 v194, v194                               // 000000008268: 7F840BC2
	v_cvt_f32_i32_e32 v195, v195                               // 00000000826C: 7F860BC3
	v_mul_f32_e32 v192, v22, v192                              // 000000008270: 0B818116
	v_mul_f32_e32 v193, v22, v193                              // 000000008274: 0B838316
	v_mul_f32_e32 v194, v22, v194                              // 000000008278: 0B858516
	v_mul_f32_e32 v195, v22, v195                              // 00000000827C: 0B878716
	v_mul_f32_dpp v192, v12, v192 row_newbcast:0 row_mask:0xf bank_mask:0xf// 000000008280: 0B8180FA FF01500C
	v_mul_f32_dpp v193, v12, v193 row_newbcast:1 row_mask:0xf bank_mask:0xf// 000000008288: 0B8382FA FF01510C
	v_mul_f32_dpp v194, v12, v194 row_newbcast:2 row_mask:0xf bank_mask:0xf// 000000008290: 0B8584FA FF01520C
	v_mul_f32_dpp v195, v12, v195 row_newbcast:3 row_mask:0xf bank_mask:0xf// 000000008298: 0B8786FA FF01530C
	v_mul_f32_e32 v192, v17, v192                              // 0000000082A0: 0B818111
	v_mul_f32_e32 v193, v17, v193                              // 0000000082A4: 0B838311
	v_mul_f32_e32 v194, v17, v194                              // 0000000082A8: 0B858511
	v_mul_f32_e32 v195, v17, v195                              // 0000000082AC: 0B878711
	v_cvt_f32_i32_e32 v196, v196                               // 0000000082B0: 7F880BC4
	v_cvt_f32_i32_e32 v197, v197                               // 0000000082B4: 7F8A0BC5
	v_cvt_f32_i32_e32 v198, v198                               // 0000000082B8: 7F8C0BC6
	v_cvt_f32_i32_e32 v199, v199                               // 0000000082BC: 7F8E0BC7
	v_mul_f32_e32 v196, v23, v196                              // 0000000082C0: 0B898917
	v_mul_f32_e32 v197, v23, v197                              // 0000000082C4: 0B8B8B17
	v_mul_f32_e32 v198, v23, v198                              // 0000000082C8: 0B8D8D17
	v_mul_f32_e32 v199, v23, v199                              // 0000000082CC: 0B8F8F17
	v_mul_f32_dpp v196, v12, v196 row_newbcast:0 row_mask:0xf bank_mask:0xf// 0000000082D0: 0B8988FA FF01500C
	v_mul_f32_dpp v197, v12, v197 row_newbcast:1 row_mask:0xf bank_mask:0xf// 0000000082D8: 0B8B8AFA FF01510C
	v_mul_f32_dpp v198, v12, v198 row_newbcast:2 row_mask:0xf bank_mask:0xf// 0000000082E0: 0B8D8CFA FF01520C
	v_mul_f32_dpp v199, v12, v199 row_newbcast:3 row_mask:0xf bank_mask:0xf// 0000000082E8: 0B8F8EFA FF01530C
	v_mul_f32_e32 v196, v18, v196                              // 0000000082F0: 0B898912
	v_mul_f32_e32 v197, v18, v197                              // 0000000082F4: 0B8B8B12
	v_mul_f32_e32 v198, v18, v198                              // 0000000082F8: 0B8D8D12
	v_mul_f32_e32 v199, v18, v199                              // 0000000082FC: 0B8F8F12
	v_cvt_f32_i32_e32 v200, v200                               // 000000008300: 7F900BC8
	v_cvt_f32_i32_e32 v201, v201                               // 000000008304: 7F920BC9
	v_cvt_f32_i32_e32 v202, v202                               // 000000008308: 7F940BCA
	v_cvt_f32_i32_e32 v203, v203                               // 00000000830C: 7F960BCB
	v_mul_f32_e32 v200, v22, v200                              // 000000008310: 0B919116
	v_mul_f32_e32 v201, v22, v201                              // 000000008314: 0B939316
	v_mul_f32_e32 v202, v22, v202                              // 000000008318: 0B959516
	v_mul_f32_e32 v203, v22, v203                              // 00000000831C: 0B979716
	v_mul_f32_dpp v200, v12, v200 row_newbcast:4 row_mask:0xf bank_mask:0xf// 000000008320: 0B9190FA FF01540C
	v_mul_f32_dpp v201, v12, v201 row_newbcast:5 row_mask:0xf bank_mask:0xf// 000000008328: 0B9392FA FF01550C
	v_mul_f32_dpp v202, v12, v202 row_newbcast:6 row_mask:0xf bank_mask:0xf// 000000008330: 0B9594FA FF01560C
	v_mul_f32_dpp v203, v12, v203 row_newbcast:7 row_mask:0xf bank_mask:0xf// 000000008338: 0B9796FA FF01570C
	v_mul_f32_e32 v200, v17, v200                              // 000000008340: 0B919111
	v_mul_f32_e32 v201, v17, v201                              // 000000008344: 0B939311
	v_mul_f32_e32 v202, v17, v202                              // 000000008348: 0B959511
	v_mul_f32_e32 v203, v17, v203                              // 00000000834C: 0B979711
	v_cvt_f32_i32_e32 v204, v204                               // 000000008350: 7F980BCC
	v_cvt_f32_i32_e32 v205, v205                               // 000000008354: 7F9A0BCD
	v_cvt_f32_i32_e32 v206, v206                               // 000000008358: 7F9C0BCE
	v_cvt_f32_i32_e32 v207, v207                               // 00000000835C: 7F9E0BCF
	v_mul_f32_e32 v204, v23, v204                              // 000000008360: 0B999917
	v_mul_f32_e32 v205, v23, v205                              // 000000008364: 0B9B9B17
	v_mul_f32_e32 v206, v23, v206                              // 000000008368: 0B9D9D17
	v_mul_f32_e32 v207, v23, v207                              // 00000000836C: 0B9F9F17
	v_mul_f32_dpp v204, v12, v204 row_newbcast:4 row_mask:0xf bank_mask:0xf// 000000008370: 0B9998FA FF01540C
	v_mul_f32_dpp v205, v12, v205 row_newbcast:5 row_mask:0xf bank_mask:0xf// 000000008378: 0B9B9AFA FF01550C
	v_mul_f32_dpp v206, v12, v206 row_newbcast:6 row_mask:0xf bank_mask:0xf// 000000008380: 0B9D9CFA FF01560C
	v_mul_f32_dpp v207, v12, v207 row_newbcast:7 row_mask:0xf bank_mask:0xf// 000000008388: 0B9F9EFA FF01570C
	v_mul_f32_e32 v204, v18, v204                              // 000000008390: 0B999912
	v_mul_f32_e32 v205, v18, v205                              // 000000008394: 0B9B9B12
	v_mul_f32_e32 v206, v18, v206                              // 000000008398: 0B9D9D12
	v_mul_f32_e32 v207, v18, v207                              // 00000000839C: 0B9F9F12
	v_cvt_f32_i32_e32 v208, v208                               // 0000000083A0: 7FA00BD0
	v_cvt_f32_i32_e32 v209, v209                               // 0000000083A4: 7FA20BD1
	v_cvt_f32_i32_e32 v210, v210                               // 0000000083A8: 7FA40BD2
	v_cvt_f32_i32_e32 v211, v211                               // 0000000083AC: 7FA60BD3
	v_mul_f32_e32 v208, v22, v208                              // 0000000083B0: 0BA1A116
	v_mul_f32_e32 v209, v22, v209                              // 0000000083B4: 0BA3A316
	v_mul_f32_e32 v210, v22, v210                              // 0000000083B8: 0BA5A516
	v_mul_f32_e32 v211, v22, v211                              // 0000000083BC: 0BA7A716
	v_mul_f32_dpp v208, v12, v208 row_newbcast:8 row_mask:0xf bank_mask:0xf// 0000000083C0: 0BA1A0FA FF01580C
	v_mul_f32_dpp v209, v12, v209 row_newbcast:9 row_mask:0xf bank_mask:0xf// 0000000083C8: 0BA3A2FA FF01590C
	v_mul_f32_dpp v210, v12, v210 row_newbcast:10 row_mask:0xf bank_mask:0xf// 0000000083D0: 0BA5A4FA FF015A0C
	v_mul_f32_dpp v211, v12, v211 row_newbcast:11 row_mask:0xf bank_mask:0xf// 0000000083D8: 0BA7A6FA FF015B0C
	v_mul_f32_e32 v208, v17, v208                              // 0000000083E0: 0BA1A111
	v_mul_f32_e32 v209, v17, v209                              // 0000000083E4: 0BA3A311
	v_mul_f32_e32 v210, v17, v210                              // 0000000083E8: 0BA5A511
	v_mul_f32_e32 v211, v17, v211                              // 0000000083EC: 0BA7A711
	v_cvt_f32_i32_e32 v212, v212                               // 0000000083F0: 7FA80BD4
	v_cvt_f32_i32_e32 v213, v213                               // 0000000083F4: 7FAA0BD5
	v_cvt_f32_i32_e32 v214, v214                               // 0000000083F8: 7FAC0BD6
	v_cvt_f32_i32_e32 v215, v215                               // 0000000083FC: 7FAE0BD7
	v_mul_f32_e32 v212, v23, v212                              // 000000008400: 0BA9A917
	v_mul_f32_e32 v213, v23, v213                              // 000000008404: 0BABAB17
	v_mul_f32_e32 v214, v23, v214                              // 000000008408: 0BADAD17
	v_mul_f32_e32 v215, v23, v215                              // 00000000840C: 0BAFAF17
	v_mul_f32_dpp v212, v12, v212 row_newbcast:8 row_mask:0xf bank_mask:0xf// 000000008410: 0BA9A8FA FF01580C
	v_mul_f32_dpp v213, v12, v213 row_newbcast:9 row_mask:0xf bank_mask:0xf// 000000008418: 0BABAAFA FF01590C
	v_mul_f32_dpp v214, v12, v214 row_newbcast:10 row_mask:0xf bank_mask:0xf// 000000008420: 0BADACFA FF015A0C
	v_mul_f32_dpp v215, v12, v215 row_newbcast:11 row_mask:0xf bank_mask:0xf// 000000008428: 0BAFAEFA FF015B0C
	v_mul_f32_e32 v212, v18, v212                              // 000000008430: 0BA9A912
	v_mul_f32_e32 v213, v18, v213                              // 000000008434: 0BABAB12
	v_mul_f32_e32 v214, v18, v214                              // 000000008438: 0BADAD12
	v_mul_f32_e32 v215, v18, v215                              // 00000000843C: 0BAFAF12
	v_cvt_f32_i32_e32 v216, v216                               // 000000008440: 7FB00BD8
	v_cvt_f32_i32_e32 v217, v217                               // 000000008444: 7FB20BD9
	v_cvt_f32_i32_e32 v218, v218                               // 000000008448: 7FB40BDA
	v_cvt_f32_i32_e32 v219, v219                               // 00000000844C: 7FB60BDB
	v_mul_f32_e32 v216, v22, v216                              // 000000008450: 0BB1B116
	v_mul_f32_e32 v217, v22, v217                              // 000000008454: 0BB3B316
	v_mul_f32_e32 v218, v22, v218                              // 000000008458: 0BB5B516
	v_mul_f32_e32 v219, v22, v219                              // 00000000845C: 0BB7B716
	v_mul_f32_dpp v216, v12, v216 row_newbcast:12 row_mask:0xf bank_mask:0xf// 000000008460: 0BB1B0FA FF015C0C
	v_mul_f32_dpp v217, v12, v217 row_newbcast:13 row_mask:0xf bank_mask:0xf// 000000008468: 0BB3B2FA FF015D0C
	v_mul_f32_dpp v218, v12, v218 row_newbcast:14 row_mask:0xf bank_mask:0xf// 000000008470: 0BB5B4FA FF015E0C
	v_mul_f32_dpp v219, v12, v219 row_newbcast:15 row_mask:0xf bank_mask:0xf// 000000008478: 0BB7B6FA FF015F0C
	v_mul_f32_e32 v216, v17, v216                              // 000000008480: 0BB1B111
	v_mul_f32_e32 v217, v17, v217                              // 000000008484: 0BB3B311
	v_mul_f32_e32 v218, v17, v218                              // 000000008488: 0BB5B511
	v_mul_f32_e32 v219, v17, v219                              // 00000000848C: 0BB7B711
	v_cvt_f32_i32_e32 v220, v220                               // 000000008490: 7FB80BDC
	v_cvt_f32_i32_e32 v221, v221                               // 000000008494: 7FBA0BDD
	v_cvt_f32_i32_e32 v222, v222                               // 000000008498: 7FBC0BDE
	v_cvt_f32_i32_e32 v223, v223                               // 00000000849C: 7FBE0BDF
	v_mul_f32_e32 v220, v23, v220                              // 0000000084A0: 0BB9B917
	v_mul_f32_e32 v221, v23, v221                              // 0000000084A4: 0BBBBB17
	v_mul_f32_e32 v222, v23, v222                              // 0000000084A8: 0BBDBD17
	v_mul_f32_e32 v223, v23, v223                              // 0000000084AC: 0BBFBF17
	v_mul_f32_dpp v220, v12, v220 row_newbcast:12 row_mask:0xf bank_mask:0xf// 0000000084B0: 0BB9B8FA FF015C0C
	v_mul_f32_dpp v221, v12, v221 row_newbcast:13 row_mask:0xf bank_mask:0xf// 0000000084B8: 0BBBBAFA FF015D0C
	v_mul_f32_dpp v222, v12, v222 row_newbcast:14 row_mask:0xf bank_mask:0xf// 0000000084C0: 0BBDBCFA FF015E0C
	v_mul_f32_dpp v223, v12, v223 row_newbcast:15 row_mask:0xf bank_mask:0xf// 0000000084C8: 0BBFBEFA FF015F0C
	v_mul_f32_e32 v220, v18, v220                              // 0000000084D0: 0BB9B912
	v_mul_f32_e32 v221, v18, v221                              // 0000000084D4: 0BBBBB12
	v_mul_f32_e32 v222, v18, v222                              // 0000000084D8: 0BBDBD12
	v_mul_f32_e32 v223, v18, v223                              // 0000000084DC: 0BBFBF12
	v_cmp_u_f32_e64 s[48:49], v192, v192                       // 0000000084E0: D0480030 000381C0
	v_add3_u32 v40, v192, v43, 1                               // 0000000084E8: D1FF0028 020657C0
	v_cndmask_b32_e64 v44, v40, v42, s[48:49]                  // 0000000084F0: D100002C 00C25528
	v_cmp_u_f32_e64 s[48:49], v193, v193                       // 0000000084F8: D0480030 000383C1
	v_add3_u32 v40, v193, v43, 1                               // 000000008500: D1FF0028 020657C1
	v_cndmask_b32_e64 v45, v40, v42, s[48:49]                  // 000000008508: D100002D 00C25528
	v_perm_b32 v192, v45, v44, s52                             // 000000008510: D1ED00C0 00D2592D
	v_cmp_u_f32_e64 s[48:49], v194, v194                       // 000000008518: D0480030 000385C2
	v_add3_u32 v40, v194, v43, 1                               // 000000008520: D1FF0028 020657C2
	v_cndmask_b32_e64 v44, v40, v42, s[48:49]                  // 000000008528: D100002C 00C25528
	v_cmp_u_f32_e64 s[48:49], v195, v195                       // 000000008530: D0480030 000387C3
	v_add3_u32 v40, v195, v43, 1                               // 000000008538: D1FF0028 020657C3
	v_cndmask_b32_e64 v45, v40, v42, s[48:49]                  // 000000008540: D100002D 00C25528
	v_perm_b32 v193, v45, v44, s52                             // 000000008548: D1ED00C1 00D2592D
	v_cmp_u_f32_e64 s[48:49], v196, v196                       // 000000008550: D0480030 000389C4
	v_add3_u32 v40, v196, v43, 1                               // 000000008558: D1FF0028 020657C4
	v_cndmask_b32_e64 v44, v40, v42, s[48:49]                  // 000000008560: D100002C 00C25528
	v_cmp_u_f32_e64 s[48:49], v197, v197                       // 000000008568: D0480030 00038BC5
	v_add3_u32 v40, v197, v43, 1                               // 000000008570: D1FF0028 020657C5
	v_cndmask_b32_e64 v45, v40, v42, s[48:49]                  // 000000008578: D100002D 00C25528
	v_perm_b32 v194, v45, v44, s52                             // 000000008580: D1ED00C2 00D2592D
	v_cmp_u_f32_e64 s[48:49], v198, v198                       // 000000008588: D0480030 00038DC6
	v_add3_u32 v40, v198, v43, 1                               // 000000008590: D1FF0028 020657C6
	v_cndmask_b32_e64 v44, v40, v42, s[48:49]                  // 000000008598: D100002C 00C25528
	v_cmp_u_f32_e64 s[48:49], v199, v199                       // 0000000085A0: D0480030 00038FC7
	v_add3_u32 v40, v199, v43, 1                               // 0000000085A8: D1FF0028 020657C7
	v_cndmask_b32_e64 v45, v40, v42, s[48:49]                  // 0000000085B0: D100002D 00C25528
	v_perm_b32 v195, v45, v44, s52                             // 0000000085B8: D1ED00C3 00D2592D
	v_cmp_u_f32_e64 s[48:49], v200, v200                       // 0000000085C0: D0480030 000391C8
	v_add3_u32 v40, v200, v43, 1                               // 0000000085C8: D1FF0028 020657C8
	v_cndmask_b32_e64 v44, v40, v42, s[48:49]                  // 0000000085D0: D100002C 00C25528
	v_cmp_u_f32_e64 s[48:49], v201, v201                       // 0000000085D8: D0480030 000393C9
	v_add3_u32 v40, v201, v43, 1                               // 0000000085E0: D1FF0028 020657C9
	v_cndmask_b32_e64 v45, v40, v42, s[48:49]                  // 0000000085E8: D100002D 00C25528
	v_perm_b32 v196, v45, v44, s52                             // 0000000085F0: D1ED00C4 00D2592D
	v_cmp_u_f32_e64 s[48:49], v202, v202                       // 0000000085F8: D0480030 000395CA
	v_add3_u32 v40, v202, v43, 1                               // 000000008600: D1FF0028 020657CA
	v_cndmask_b32_e64 v44, v40, v42, s[48:49]                  // 000000008608: D100002C 00C25528
	v_cmp_u_f32_e64 s[48:49], v203, v203                       // 000000008610: D0480030 000397CB
	v_add3_u32 v40, v203, v43, 1                               // 000000008618: D1FF0028 020657CB
	v_cndmask_b32_e64 v45, v40, v42, s[48:49]                  // 000000008620: D100002D 00C25528
	v_perm_b32 v197, v45, v44, s52                             // 000000008628: D1ED00C5 00D2592D
	v_cmp_u_f32_e64 s[48:49], v204, v204                       // 000000008630: D0480030 000399CC
	v_add3_u32 v40, v204, v43, 1                               // 000000008638: D1FF0028 020657CC
	v_cndmask_b32_e64 v44, v40, v42, s[48:49]                  // 000000008640: D100002C 00C25528
	v_cmp_u_f32_e64 s[48:49], v205, v205                       // 000000008648: D0480030 00039BCD
	v_add3_u32 v40, v205, v43, 1                               // 000000008650: D1FF0028 020657CD
	v_cndmask_b32_e64 v45, v40, v42, s[48:49]                  // 000000008658: D100002D 00C25528
	v_perm_b32 v198, v45, v44, s52                             // 000000008660: D1ED00C6 00D2592D
	v_cmp_u_f32_e64 s[48:49], v206, v206                       // 000000008668: D0480030 00039DCE
	v_add3_u32 v40, v206, v43, 1                               // 000000008670: D1FF0028 020657CE
	v_cndmask_b32_e64 v44, v40, v42, s[48:49]                  // 000000008678: D100002C 00C25528
	v_cmp_u_f32_e64 s[48:49], v207, v207                       // 000000008680: D0480030 00039FCF
	v_add3_u32 v40, v207, v43, 1                               // 000000008688: D1FF0028 020657CF
	v_cndmask_b32_e64 v45, v40, v42, s[48:49]                  // 000000008690: D100002D 00C25528
	v_perm_b32 v199, v45, v44, s52                             // 000000008698: D1ED00C7 00D2592D
	v_cmp_u_f32_e64 s[48:49], v208, v208                       // 0000000086A0: D0480030 0003A1D0
	v_add3_u32 v40, v208, v43, 1                               // 0000000086A8: D1FF0028 020657D0
	v_cndmask_b32_e64 v44, v40, v42, s[48:49]                  // 0000000086B0: D100002C 00C25528
	v_cmp_u_f32_e64 s[48:49], v209, v209                       // 0000000086B8: D0480030 0003A3D1
	v_add3_u32 v40, v209, v43, 1                               // 0000000086C0: D1FF0028 020657D1
	v_cndmask_b32_e64 v45, v40, v42, s[48:49]                  // 0000000086C8: D100002D 00C25528
	v_perm_b32 v200, v45, v44, s52                             // 0000000086D0: D1ED00C8 00D2592D
	v_cmp_u_f32_e64 s[48:49], v210, v210                       // 0000000086D8: D0480030 0003A5D2
	v_add3_u32 v40, v210, v43, 1                               // 0000000086E0: D1FF0028 020657D2
	v_cndmask_b32_e64 v44, v40, v42, s[48:49]                  // 0000000086E8: D100002C 00C25528
	v_cmp_u_f32_e64 s[48:49], v211, v211                       // 0000000086F0: D0480030 0003A7D3
	v_add3_u32 v40, v211, v43, 1                               // 0000000086F8: D1FF0028 020657D3
	v_cndmask_b32_e64 v45, v40, v42, s[48:49]                  // 000000008700: D100002D 00C25528
	v_perm_b32 v201, v45, v44, s52                             // 000000008708: D1ED00C9 00D2592D
	v_cmp_u_f32_e64 s[48:49], v212, v212                       // 000000008710: D0480030 0003A9D4
	v_add3_u32 v40, v212, v43, 1                               // 000000008718: D1FF0028 020657D4
	v_cndmask_b32_e64 v44, v40, v42, s[48:49]                  // 000000008720: D100002C 00C25528
	v_cmp_u_f32_e64 s[48:49], v213, v213                       // 000000008728: D0480030 0003ABD5
	v_add3_u32 v40, v213, v43, 1                               // 000000008730: D1FF0028 020657D5
	v_cndmask_b32_e64 v45, v40, v42, s[48:49]                  // 000000008738: D100002D 00C25528
	v_perm_b32 v202, v45, v44, s52                             // 000000008740: D1ED00CA 00D2592D
	v_cmp_u_f32_e64 s[48:49], v214, v214                       // 000000008748: D0480030 0003ADD6
	v_add3_u32 v40, v214, v43, 1                               // 000000008750: D1FF0028 020657D6
	v_cndmask_b32_e64 v44, v40, v42, s[48:49]                  // 000000008758: D100002C 00C25528
	v_cmp_u_f32_e64 s[48:49], v215, v215                       // 000000008760: D0480030 0003AFD7
	v_add3_u32 v40, v215, v43, 1                               // 000000008768: D1FF0028 020657D7
	v_cndmask_b32_e64 v45, v40, v42, s[48:49]                  // 000000008770: D100002D 00C25528
	v_perm_b32 v203, v45, v44, s52                             // 000000008778: D1ED00CB 00D2592D
	v_cmp_u_f32_e64 s[48:49], v216, v216                       // 000000008780: D0480030 0003B1D8
	v_add3_u32 v40, v216, v43, 1                               // 000000008788: D1FF0028 020657D8
	v_cndmask_b32_e64 v44, v40, v42, s[48:49]                  // 000000008790: D100002C 00C25528
	v_cmp_u_f32_e64 s[48:49], v217, v217                       // 000000008798: D0480030 0003B3D9
	v_add3_u32 v40, v217, v43, 1                               // 0000000087A0: D1FF0028 020657D9
	v_cndmask_b32_e64 v45, v40, v42, s[48:49]                  // 0000000087A8: D100002D 00C25528
	v_perm_b32 v204, v45, v44, s52                             // 0000000087B0: D1ED00CC 00D2592D
	v_cmp_u_f32_e64 s[48:49], v218, v218                       // 0000000087B8: D0480030 0003B5DA
	v_add3_u32 v40, v218, v43, 1                               // 0000000087C0: D1FF0028 020657DA
	v_cndmask_b32_e64 v44, v40, v42, s[48:49]                  // 0000000087C8: D100002C 00C25528
	v_cmp_u_f32_e64 s[48:49], v219, v219                       // 0000000087D0: D0480030 0003B7DB
	v_add3_u32 v40, v219, v43, 1                               // 0000000087D8: D1FF0028 020657DB
	v_cndmask_b32_e64 v45, v40, v42, s[48:49]                  // 0000000087E0: D100002D 00C25528
	v_perm_b32 v205, v45, v44, s52                             // 0000000087E8: D1ED00CD 00D2592D
	v_cmp_u_f32_e64 s[48:49], v220, v220                       // 0000000087F0: D0480030 0003B9DC
	v_add3_u32 v40, v220, v43, 1                               // 0000000087F8: D1FF0028 020657DC
	v_cndmask_b32_e64 v44, v40, v42, s[48:49]                  // 000000008800: D100002C 00C25528
	v_cmp_u_f32_e64 s[48:49], v221, v221                       // 000000008808: D0480030 0003BBDD
	v_add3_u32 v40, v221, v43, 1                               // 000000008810: D1FF0028 020657DD
	v_cndmask_b32_e64 v45, v40, v42, s[48:49]                  // 000000008818: D100002D 00C25528
	v_perm_b32 v206, v45, v44, s52                             // 000000008820: D1ED00CE 00D2592D
	v_cmp_u_f32_e64 s[48:49], v222, v222                       // 000000008828: D0480030 0003BDDE
	v_add3_u32 v40, v222, v43, 1                               // 000000008830: D1FF0028 020657DE
	v_cndmask_b32_e64 v44, v40, v42, s[48:49]                  // 000000008838: D100002C 00C25528
	v_cmp_u_f32_e64 s[48:49], v223, v223                       // 000000008840: D0480030 0003BFDF
	v_add3_u32 v40, v223, v43, 1                               // 000000008848: D1FF0028 020657DF
	v_cndmask_b32_e64 v45, v40, v42, s[48:49]                  // 000000008850: D100002D 00C25528
	v_perm_b32 v207, v45, v44, s52                             // 000000008858: D1ED00CF 00D2592D
	ds_write_b64 v3, v[192:193] offset:26880                   // 000000008860: D89A6900 0000C003
	ds_write_b64 v3, v[194:195] offset:35584                   // 000000008868: D89A8B00 0000C203
	ds_write_b64 v3, v[196:197] offset:29056                   // 000000008870: D89A7180 0000C403
	ds_write_b64 v3, v[198:199] offset:37760                   // 000000008878: D89A9380 0000C603
	ds_write_b64 v3, v[200:201] offset:31232                   // 000000008880: D89A7A00 0000C803
	ds_write_b64 v3, v[202:203] offset:39936                   // 000000008888: D89A9C00 0000CA03
	ds_write_b64 v3, v[204:205] offset:33408                   // 000000008890: D89A8280 0000CC03
	ds_write_b64 v3, v[206:207] offset:42112                   // 000000008898: D89AA480 0000CE03
	s_waitcnt lgkmcnt(0)                                       // 0000000088A0: BF8CC07F
	s_barrier                                                  // 0000000088A4: BF8A0000
	ds_read_b32 v64, v4 offset:26880                           // 0000000088A8: D86C6900 40000004
	ds_read_b32 v65, v4 offset:31232                           // 0000000088B0: D86C7A00 41000004
	ds_read_b32 v66, v4 offset:26912                           // 0000000088B8: D86C6920 42000004
	ds_read_b32 v67, v4 offset:31264                           // 0000000088C0: D86C7A20 43000004
	ds_read_b32 v68, v4 offset:26944                           // 0000000088C8: D86C6940 44000004
	ds_read_b32 v69, v4 offset:31296                           // 0000000088D0: D86C7A40 45000004
	ds_read_b32 v70, v4 offset:26976                           // 0000000088D8: D86C6960 46000004
	ds_read_b32 v71, v4 offset:31328                           // 0000000088E0: D86C7A60 47000004
	ds_read_b32 v72, v4 offset:35584                           // 0000000088E8: D86C8B00 48000004
	ds_read_b32 v73, v4 offset:39936                           // 0000000088F0: D86C9C00 49000004
	ds_read_b32 v74, v4 offset:35616                           // 0000000088F8: D86C8B20 4A000004
	ds_read_b32 v75, v4 offset:39968                           // 000000008900: D86C9C20 4B000004
	ds_read_b32 v76, v4 offset:35648                           // 000000008908: D86C8B40 4C000004
	ds_read_b32 v77, v4 offset:40000                           // 000000008910: D86C9C40 4D000004
	ds_read_b32 v78, v4 offset:35680                           // 000000008918: D86C8B60 4E000004
	ds_read_b32 v79, v4 offset:40032                           // 000000008920: D86C9C60 4F000004
	s_waitcnt lgkmcnt(0)                                       // 000000008928: BF8CC07F
	s_mov_b64 exec, s[20:21]                                   // 00000000892C: BEFE0114
	global_atomic_pk_add_bf16 v80, v64, s[8:9]                 // 000000008930: DD488000 00084050
	s_mov_b64 exec, s[36:37]                                   // 000000008938: BEFE0124
	s_mov_b64 exec, s[20:21]                                   // 00000000893C: BEFE0114
	global_atomic_pk_add_bf16 v80, v65, s[8:9] offset:256      // 000000008940: DD488100 00084150
	s_mov_b64 exec, s[36:37]                                   // 000000008948: BEFE0124
	s_mov_b64 exec, s[22:23]                                   // 00000000894C: BEFE0116
	global_atomic_pk_add_bf16 v82, v66, s[8:9]                 // 000000008950: DD488000 00084252
	s_mov_b64 exec, s[36:37]                                   // 000000008958: BEFE0124
	s_mov_b64 exec, s[22:23]                                   // 00000000895C: BEFE0116
	global_atomic_pk_add_bf16 v82, v67, s[8:9] offset:256      // 000000008960: DD488100 00084352
	s_mov_b64 exec, s[36:37]                                   // 000000008968: BEFE0124
	s_mov_b64 exec, s[24:25]                                   // 00000000896C: BEFE0118
	global_atomic_pk_add_bf16 v84, v68, s[8:9]                 // 000000008970: DD488000 00084454
	s_mov_b64 exec, s[36:37]                                   // 000000008978: BEFE0124
	s_mov_b64 exec, s[24:25]                                   // 00000000897C: BEFE0118
	global_atomic_pk_add_bf16 v84, v69, s[8:9] offset:256      // 000000008980: DD488100 00084554
	s_mov_b64 exec, s[36:37]                                   // 000000008988: BEFE0124
	s_mov_b64 exec, s[26:27]                                   // 00000000898C: BEFE011A
	global_atomic_pk_add_bf16 v86, v70, s[8:9]                 // 000000008990: DD488000 00084656
	s_mov_b64 exec, s[36:37]                                   // 000000008998: BEFE0124
	s_mov_b64 exec, s[26:27]                                   // 00000000899C: BEFE011A
	global_atomic_pk_add_bf16 v86, v71, s[8:9] offset:256      // 0000000089A0: DD488100 00084756
	s_mov_b64 exec, s[36:37]                                   // 0000000089A8: BEFE0124
	s_mov_b64 exec, s[28:29]                                   // 0000000089AC: BEFE011C
	global_atomic_pk_add_bf16 v88, v72, s[8:9]                 // 0000000089B0: DD488000 00084858
	s_mov_b64 exec, s[36:37]                                   // 0000000089B8: BEFE0124
	s_mov_b64 exec, s[28:29]                                   // 0000000089BC: BEFE011C
	global_atomic_pk_add_bf16 v88, v73, s[8:9] offset:256      // 0000000089C0: DD488100 00084958
	s_mov_b64 exec, s[36:37]                                   // 0000000089C8: BEFE0124
	s_mov_b64 exec, s[30:31]                                   // 0000000089CC: BEFE011E
	global_atomic_pk_add_bf16 v90, v74, s[8:9]                 // 0000000089D0: DD488000 00084A5A
	s_mov_b64 exec, s[36:37]                                   // 0000000089D8: BEFE0124
	s_mov_b64 exec, s[30:31]                                   // 0000000089DC: BEFE011E
	global_atomic_pk_add_bf16 v90, v75, s[8:9] offset:256      // 0000000089E0: DD488100 00084B5A
	s_mov_b64 exec, s[36:37]                                   // 0000000089E8: BEFE0124
	s_mov_b64 exec, s[32:33]                                   // 0000000089EC: BEFE0120
	global_atomic_pk_add_bf16 v92, v76, s[8:9]                 // 0000000089F0: DD488000 00084C5C
	s_mov_b64 exec, s[36:37]                                   // 0000000089F8: BEFE0124
	s_mov_b64 exec, s[32:33]                                   // 0000000089FC: BEFE0120
	global_atomic_pk_add_bf16 v92, v77, s[8:9] offset:256      // 000000008A00: DD488100 00084D5C
	s_mov_b64 exec, s[36:37]                                   // 000000008A08: BEFE0124
	s_mov_b64 exec, s[34:35]                                   // 000000008A0C: BEFE0122
	global_atomic_pk_add_bf16 v94, v78, s[8:9]                 // 000000008A10: DD488000 00084E5E
	s_mov_b64 exec, s[36:37]                                   // 000000008A18: BEFE0124
	s_mov_b64 exec, s[34:35]                                   // 000000008A1C: BEFE0122
	global_atomic_pk_add_bf16 v94, v79, s[8:9] offset:256      // 000000008A20: DD488100 00084F5E
	s_mov_b64 exec, s[36:37]                                   // 000000008A28: BEFE0124
	s_add_u32 s8, s59, s8                                      // 000000008A2C: 8008083B
	s_addc_u32 s9, 0, s9                                       // 000000008A30: 82090980
	s_addk_i32 s80, 0x100                                      // 000000008A34: B7500100
	s_cmp_lt_i32 s80, s81                                      // 000000008A38: BF045150
	s_cbranch_scc0 label_0D19                                  // 000000008A3C: BF84F549
	s_branch label_1272                                        // 000000008A40: BF82FAA1

0000000000008a44 <label_17D1>:
	s_waitcnt vmcnt(0) expcnt(0) lgkmcnt(0)                    // 000000008A44: BF8C0000
	s_endpgm                                                   // 000000008A48: BF810000
